;; amdgpu-corpus repo=ROCm/rocFFT kind=compiled arch=gfx906 opt=O3
	.text
	.amdgcn_target "amdgcn-amd-amdhsa--gfx906"
	.amdhsa_code_object_version 6
	.protected	fft_rtc_fwd_len1078_factors_2_11_7_7_wgs_231_tpt_77_halfLds_dp_ip_CI_unitstride_sbrr_dirReg ; -- Begin function fft_rtc_fwd_len1078_factors_2_11_7_7_wgs_231_tpt_77_halfLds_dp_ip_CI_unitstride_sbrr_dirReg
	.globl	fft_rtc_fwd_len1078_factors_2_11_7_7_wgs_231_tpt_77_halfLds_dp_ip_CI_unitstride_sbrr_dirReg
	.p2align	8
	.type	fft_rtc_fwd_len1078_factors_2_11_7_7_wgs_231_tpt_77_halfLds_dp_ip_CI_unitstride_sbrr_dirReg,@function
fft_rtc_fwd_len1078_factors_2_11_7_7_wgs_231_tpt_77_halfLds_dp_ip_CI_unitstride_sbrr_dirReg: ; @fft_rtc_fwd_len1078_factors_2_11_7_7_wgs_231_tpt_77_halfLds_dp_ip_CI_unitstride_sbrr_dirReg
; %bb.0:
	s_load_dwordx2 s[2:3], s[4:5], 0x50
	s_load_dwordx4 s[8:11], s[4:5], 0x0
	s_load_dwordx2 s[12:13], s[4:5], 0x18
	v_mul_u32_u24_e32 v1, 0x354, v0
	v_lshrrev_b32_e32 v1, 16, v1
	v_mad_u64_u32 v[1:2], s[0:1], s6, 3, v[1:2]
	v_mov_b32_e32 v5, 0
	s_waitcnt lgkmcnt(0)
	v_cmp_lt_u64_e64 s[0:1], s[10:11], 2
	v_mov_b32_e32 v2, v5
	v_mov_b32_e32 v3, 0
	;; [unrolled: 1-line block ×3, first 2 shown]
	s_and_b64 vcc, exec, s[0:1]
	v_mov_b32_e32 v4, 0
	v_mov_b32_e32 v9, v1
	s_cbranch_vccnz .LBB0_8
; %bb.1:
	s_load_dwordx2 s[0:1], s[4:5], 0x10
	s_add_u32 s6, s12, 8
	s_addc_u32 s7, s13, 0
	v_mov_b32_e32 v3, 0
	v_mov_b32_e32 v8, v2
	s_waitcnt lgkmcnt(0)
	s_add_u32 s16, s0, 8
	s_mov_b64 s[14:15], 1
	v_mov_b32_e32 v4, 0
	s_addc_u32 s17, s1, 0
	v_mov_b32_e32 v7, v1
.LBB0_2:                                ; =>This Inner Loop Header: Depth=1
	s_load_dwordx2 s[18:19], s[16:17], 0x0
                                        ; implicit-def: $vgpr9_vgpr10
	s_waitcnt lgkmcnt(0)
	v_or_b32_e32 v6, s19, v8
	v_cmp_ne_u64_e32 vcc, 0, v[5:6]
	s_and_saveexec_b64 s[0:1], vcc
	s_xor_b64 s[20:21], exec, s[0:1]
	s_cbranch_execz .LBB0_4
; %bb.3:                                ;   in Loop: Header=BB0_2 Depth=1
	v_cvt_f32_u32_e32 v2, s18
	v_cvt_f32_u32_e32 v6, s19
	s_sub_u32 s0, 0, s18
	s_subb_u32 s1, 0, s19
	v_mac_f32_e32 v2, 0x4f800000, v6
	v_rcp_f32_e32 v2, v2
	v_mul_f32_e32 v2, 0x5f7ffffc, v2
	v_mul_f32_e32 v6, 0x2f800000, v2
	v_trunc_f32_e32 v6, v6
	v_mac_f32_e32 v2, 0xcf800000, v6
	v_cvt_u32_f32_e32 v6, v6
	v_cvt_u32_f32_e32 v2, v2
	v_mul_lo_u32 v9, s0, v6
	v_mul_hi_u32 v10, s0, v2
	v_mul_lo_u32 v12, s1, v2
	v_mul_lo_u32 v11, s0, v2
	v_add_u32_e32 v9, v10, v9
	v_add_u32_e32 v9, v9, v12
	v_mul_hi_u32 v10, v2, v11
	v_mul_lo_u32 v12, v2, v9
	v_mul_hi_u32 v14, v2, v9
	v_mul_hi_u32 v13, v6, v11
	v_mul_lo_u32 v11, v6, v11
	v_mul_hi_u32 v15, v6, v9
	v_add_co_u32_e32 v10, vcc, v10, v12
	v_addc_co_u32_e32 v12, vcc, 0, v14, vcc
	v_mul_lo_u32 v9, v6, v9
	v_add_co_u32_e32 v10, vcc, v10, v11
	v_addc_co_u32_e32 v10, vcc, v12, v13, vcc
	v_addc_co_u32_e32 v11, vcc, 0, v15, vcc
	v_add_co_u32_e32 v9, vcc, v10, v9
	v_addc_co_u32_e32 v10, vcc, 0, v11, vcc
	v_add_co_u32_e32 v2, vcc, v2, v9
	v_addc_co_u32_e32 v6, vcc, v6, v10, vcc
	v_mul_lo_u32 v9, s0, v6
	v_mul_hi_u32 v10, s0, v2
	v_mul_lo_u32 v11, s1, v2
	v_mul_lo_u32 v12, s0, v2
	v_add_u32_e32 v9, v10, v9
	v_add_u32_e32 v9, v9, v11
	v_mul_lo_u32 v13, v2, v9
	v_mul_hi_u32 v14, v2, v12
	v_mul_hi_u32 v15, v2, v9
	;; [unrolled: 1-line block ×3, first 2 shown]
	v_mul_lo_u32 v12, v6, v12
	v_mul_hi_u32 v10, v6, v9
	v_add_co_u32_e32 v13, vcc, v14, v13
	v_addc_co_u32_e32 v14, vcc, 0, v15, vcc
	v_mul_lo_u32 v9, v6, v9
	v_add_co_u32_e32 v12, vcc, v13, v12
	v_addc_co_u32_e32 v11, vcc, v14, v11, vcc
	v_addc_co_u32_e32 v10, vcc, 0, v10, vcc
	v_add_co_u32_e32 v9, vcc, v11, v9
	v_addc_co_u32_e32 v10, vcc, 0, v10, vcc
	v_add_co_u32_e32 v2, vcc, v2, v9
	v_addc_co_u32_e32 v6, vcc, v6, v10, vcc
	v_mad_u64_u32 v[9:10], s[0:1], v7, v6, 0
	v_mul_hi_u32 v11, v7, v2
	v_add_co_u32_e32 v13, vcc, v11, v9
	v_addc_co_u32_e32 v14, vcc, 0, v10, vcc
	v_mad_u64_u32 v[9:10], s[0:1], v8, v2, 0
	v_mad_u64_u32 v[11:12], s[0:1], v8, v6, 0
	v_add_co_u32_e32 v2, vcc, v13, v9
	v_addc_co_u32_e32 v2, vcc, v14, v10, vcc
	v_addc_co_u32_e32 v6, vcc, 0, v12, vcc
	v_add_co_u32_e32 v2, vcc, v2, v11
	v_addc_co_u32_e32 v6, vcc, 0, v6, vcc
	v_mul_lo_u32 v11, s19, v2
	v_mul_lo_u32 v12, s18, v6
	v_mad_u64_u32 v[9:10], s[0:1], s18, v2, 0
	v_add3_u32 v10, v10, v12, v11
	v_sub_u32_e32 v11, v8, v10
	v_mov_b32_e32 v12, s19
	v_sub_co_u32_e32 v9, vcc, v7, v9
	v_subb_co_u32_e64 v11, s[0:1], v11, v12, vcc
	v_subrev_co_u32_e64 v12, s[0:1], s18, v9
	v_subbrev_co_u32_e64 v11, s[0:1], 0, v11, s[0:1]
	v_cmp_le_u32_e64 s[0:1], s19, v11
	v_cndmask_b32_e64 v13, 0, -1, s[0:1]
	v_cmp_le_u32_e64 s[0:1], s18, v12
	v_cndmask_b32_e64 v12, 0, -1, s[0:1]
	v_cmp_eq_u32_e64 s[0:1], s19, v11
	v_cndmask_b32_e64 v11, v13, v12, s[0:1]
	v_add_co_u32_e64 v12, s[0:1], 2, v2
	v_addc_co_u32_e64 v13, s[0:1], 0, v6, s[0:1]
	v_add_co_u32_e64 v14, s[0:1], 1, v2
	v_addc_co_u32_e64 v15, s[0:1], 0, v6, s[0:1]
	v_subb_co_u32_e32 v10, vcc, v8, v10, vcc
	v_cmp_ne_u32_e64 s[0:1], 0, v11
	v_cmp_le_u32_e32 vcc, s19, v10
	v_cndmask_b32_e64 v11, v15, v13, s[0:1]
	v_cndmask_b32_e64 v13, 0, -1, vcc
	v_cmp_le_u32_e32 vcc, s18, v9
	v_cndmask_b32_e64 v9, 0, -1, vcc
	v_cmp_eq_u32_e32 vcc, s19, v10
	v_cndmask_b32_e32 v9, v13, v9, vcc
	v_cmp_ne_u32_e32 vcc, 0, v9
	v_cndmask_b32_e32 v10, v6, v11, vcc
	v_cndmask_b32_e64 v6, v14, v12, s[0:1]
	v_cndmask_b32_e32 v9, v2, v6, vcc
.LBB0_4:                                ;   in Loop: Header=BB0_2 Depth=1
	s_andn2_saveexec_b64 s[0:1], s[20:21]
	s_cbranch_execz .LBB0_6
; %bb.5:                                ;   in Loop: Header=BB0_2 Depth=1
	v_cvt_f32_u32_e32 v2, s18
	s_sub_i32 s20, 0, s18
	v_rcp_iflag_f32_e32 v2, v2
	v_mul_f32_e32 v2, 0x4f7ffffe, v2
	v_cvt_u32_f32_e32 v2, v2
	v_mul_lo_u32 v6, s20, v2
	v_mul_hi_u32 v6, v2, v6
	v_add_u32_e32 v2, v2, v6
	v_mul_hi_u32 v2, v7, v2
	v_mul_lo_u32 v6, v2, s18
	v_add_u32_e32 v9, 1, v2
	v_sub_u32_e32 v6, v7, v6
	v_subrev_u32_e32 v10, s18, v6
	v_cmp_le_u32_e32 vcc, s18, v6
	v_cndmask_b32_e32 v6, v6, v10, vcc
	v_cndmask_b32_e32 v2, v2, v9, vcc
	v_add_u32_e32 v9, 1, v2
	v_cmp_le_u32_e32 vcc, s18, v6
	v_cndmask_b32_e32 v9, v2, v9, vcc
	v_mov_b32_e32 v10, v5
.LBB0_6:                                ;   in Loop: Header=BB0_2 Depth=1
	s_or_b64 exec, exec, s[0:1]
	v_mul_lo_u32 v2, v10, s18
	v_mul_lo_u32 v6, v9, s19
	v_mad_u64_u32 v[11:12], s[0:1], v9, s18, 0
	s_load_dwordx2 s[0:1], s[6:7], 0x0
	s_add_u32 s14, s14, 1
	v_add3_u32 v2, v12, v6, v2
	v_sub_co_u32_e32 v6, vcc, v7, v11
	v_subb_co_u32_e32 v2, vcc, v8, v2, vcc
	s_waitcnt lgkmcnt(0)
	v_mul_lo_u32 v2, s0, v2
	v_mul_lo_u32 v7, s1, v6
	v_mad_u64_u32 v[3:4], s[0:1], s0, v6, v[3:4]
	s_addc_u32 s15, s15, 0
	s_add_u32 s6, s6, 8
	v_add3_u32 v4, v7, v4, v2
	v_mov_b32_e32 v6, s10
	v_mov_b32_e32 v7, s11
	s_addc_u32 s7, s7, 0
	v_cmp_ge_u64_e32 vcc, s[14:15], v[6:7]
	s_add_u32 s16, s16, 8
	s_addc_u32 s17, s17, 0
	s_cbranch_vccnz .LBB0_8
; %bb.7:                                ;   in Loop: Header=BB0_2 Depth=1
	v_mov_b32_e32 v7, v9
	v_mov_b32_e32 v8, v10
	s_branch .LBB0_2
.LBB0_8:
	s_lshl_b64 s[0:1], s[10:11], 3
	s_add_u32 s0, s12, s0
	s_addc_u32 s1, s13, s1
	s_load_dwordx2 s[6:7], s[0:1], 0x0
	s_load_dwordx2 s[10:11], s[4:5], 0x20
                                        ; implicit-def: $vgpr78_vgpr79
                                        ; implicit-def: $vgpr66_vgpr67
                                        ; implicit-def: $vgpr74_vgpr75
                                        ; implicit-def: $vgpr62_vgpr63
                                        ; implicit-def: $vgpr82_vgpr83
                                        ; implicit-def: $vgpr70_vgpr71
                                        ; implicit-def: $vgpr86_vgpr87
                                        ; implicit-def: $vgpr58_vgpr59
                                        ; implicit-def: $vgpr90_vgpr91
                                        ; implicit-def: $vgpr54_vgpr55
                                        ; implicit-def: $vgpr94_vgpr95
                                        ; implicit-def: $vgpr50_vgpr51
                                        ; implicit-def: $vgpr98_vgpr99
                                        ; implicit-def: $vgpr46_vgpr47
	s_waitcnt lgkmcnt(0)
	v_mad_u64_u32 v[2:3], s[0:1], s6, v9, v[3:4]
	v_mul_lo_u32 v5, s6, v10
	v_mul_lo_u32 v6, s7, v9
	s_mov_b32 s0, 0x3531ded
	v_mul_hi_u32 v4, v0, s0
	v_cmp_gt_u64_e32 vcc, s[10:11], v[9:10]
	v_add3_u32 v3, v6, v3, v5
	v_lshlrev_b64 v[124:125], 4, v[2:3]
	v_mul_u32_u24_e32 v4, 0x4d, v4
	v_sub_u32_e32 v122, v0, v4
	s_and_saveexec_b64 s[4:5], vcc
	s_cbranch_execz .LBB0_10
; %bb.9:
	v_mov_b32_e32 v123, 0
	v_mov_b32_e32 v0, s3
	v_add_co_u32_e64 v4, s[0:1], s2, v124
	v_lshlrev_b64 v[2:3], 4, v[122:123]
	v_addc_co_u32_e64 v0, s[0:1], v0, v125, s[0:1]
	v_add_co_u32_e64 v2, s[0:1], v4, v2
	v_addc_co_u32_e64 v3, s[0:1], v0, v3, s[0:1]
	s_movk_i32 s0, 0x2000
	v_add_co_u32_e64 v4, s[0:1], s0, v2
	v_addc_co_u32_e64 v5, s[0:1], 0, v3, s[0:1]
	s_movk_i32 s0, 0x3000
	;; [unrolled: 3-line block ×3, first 2 shown]
	global_load_dwordx4 v[44:47], v[2:3], off
	global_load_dwordx4 v[48:51], v[2:3], off offset:1232
	global_load_dwordx4 v[52:55], v[2:3], off offset:2464
	;; [unrolled: 1-line block ×3, first 2 shown]
	v_add_co_u32_e64 v2, s[0:1], s0, v2
	v_addc_co_u32_e64 v3, s[0:1], 0, v3, s[0:1]
	global_load_dwordx4 v[60:63], v[2:3], off offset:2064
	global_load_dwordx4 v[64:67], v[2:3], off offset:3296
	;; [unrolled: 1-line block ×10, first 2 shown]
.LBB0_10:
	s_or_b64 exec, exec, s[4:5]
	s_mov_b32 s0, 0xaaaaaaab
	s_waitcnt vmcnt(7)
	v_add_f64 v[2:3], v[44:45], -v[96:97]
	v_mul_hi_u32 v0, v1, s0
	s_waitcnt vmcnt(6)
	v_add_f64 v[12:13], v[48:49], -v[92:93]
	s_waitcnt vmcnt(5)
	v_add_f64 v[16:17], v[52:53], -v[88:89]
	;; [unrolled: 2-line block ×3, first 2 shown]
	v_lshrrev_b32_e32 v0, 1, v0
	v_lshl_add_u32 v0, v0, 1, v0
	v_sub_u32_e32 v4, v1, v0
	v_mul_u32_u24_e32 v4, 0x436, v4
	s_waitcnt vmcnt(1)
	v_add_f64 v[24:25], v[68:69], -v[80:81]
	v_fma_f64 v[0:1], v[44:45], 2.0, -v[2:3]
	v_lshlrev_b32_e32 v134, 3, v4
	v_add_f64 v[4:5], v[60:61], -v[72:73]
	s_waitcnt vmcnt(0)
	v_add_f64 v[8:9], v[64:65], -v[76:77]
	v_fma_f64 v[10:11], v[48:49], 2.0, -v[12:13]
	v_fma_f64 v[14:15], v[52:53], 2.0, -v[16:17]
	v_add_u32_e32 v26, 0, v134
	v_fma_f64 v[18:19], v[56:57], 2.0, -v[20:21]
	v_lshl_add_u32 v72, v122, 4, v26
	v_fma_f64 v[22:23], v[68:69], 2.0, -v[24:25]
	ds_write_b128 v72, v[0:3]
	v_fma_f64 v[2:3], v[60:61], 2.0, -v[4:5]
	v_fma_f64 v[6:7], v[64:65], 2.0, -v[8:9]
	v_add_u32_e32 v132, 0x4d, v122
	v_lshlrev_b32_e32 v0, 3, v122
	v_lshl_add_u32 v52, v132, 4, v26
	v_add_u32_e32 v123, v26, v0
	v_add3_u32 v133, 0, v0, v134
	ds_write_b128 v52, v[10:13]
	ds_write_b128 v72, v[14:17] offset:2464
	ds_write_b128 v72, v[18:21] offset:3696
	;; [unrolled: 1-line block ×5, first 2 shown]
	s_waitcnt lgkmcnt(0)
	s_barrier
	v_add_u32_e32 v53, 0x800, v133
	v_add_u32_e32 v56, 0xc00, v133
	;; [unrolled: 1-line block ×4, first 2 shown]
	ds_read_b64 v[126:127], v123
	ds_read2_b64 v[42:45], v133 offset0:98 offset1:196
	ds_read2_b64 v[38:41], v53 offset0:38 offset1:136
	;; [unrolled: 1-line block ×5, first 2 shown]
	v_cmp_gt_u32_e64 s[0:1], 21, v122
	v_add_u32_e32 v65, 0x9a0, v72
	v_add_u32_e32 v64, 0x1340, v72
	;; [unrolled: 1-line block ×3, first 2 shown]
                                        ; implicit-def: $vgpr128_vgpr129
                                        ; implicit-def: $vgpr12_vgpr13
                                        ; implicit-def: $vgpr24_vgpr25
                                        ; implicit-def: $vgpr28_vgpr29
                                        ; implicit-def: $vgpr36_vgpr37
	s_and_saveexec_b64 s[4:5], s[0:1]
	s_cbranch_execz .LBB0_12
; %bb.11:
	v_add_u32_e32 v4, 0x1000, v133
	ds_read2_b64 v[0:3], v133 offset0:77 offset1:175
	ds_read2_b64 v[34:37], v53 offset0:17 offset1:115
	ds_read2_b64 v[26:29], v56 offset0:85 offset1:183
	ds_read2_b64 v[22:25], v4 offset0:153 offset1:251
	ds_read2_b64 v[10:13], v60 offset0:93 offset1:191
	ds_read_b64 v[128:129], v133 offset:8456
	s_waitcnt lgkmcnt(5)
	v_mov_b32_e32 v7, v3
	s_waitcnt lgkmcnt(4)
	v_mov_b32_e32 v8, v34
	v_mov_b32_e32 v5, v1
	;; [unrolled: 1-line block ×5, first 2 shown]
.LBB0_12:
	s_or_b64 exec, exec, s[4:5]
	v_add_f64 v[76:77], v[46:47], -v[98:99]
	v_add_f64 v[80:81], v[50:51], -v[94:95]
	;; [unrolled: 1-line block ×7, first 2 shown]
	s_waitcnt lgkmcnt(0)
	v_fma_f64 v[74:75], v[46:47], 2.0, -v[76:77]
	v_fma_f64 v[78:79], v[50:51], 2.0, -v[80:81]
	;; [unrolled: 1-line block ×7, first 2 shown]
	s_barrier
	ds_write_b128 v72, v[74:77]
	ds_write_b128 v52, v[78:81]
	;; [unrolled: 1-line block ×3, first 2 shown]
	ds_write_b128 v72, v[86:89] offset:3696
	ds_write_b128 v64, v[90:93]
	ds_write_b128 v72, v[0:3] offset:6160
	ds_write_b128 v61, v[46:49]
	s_waitcnt lgkmcnt(0)
	s_barrier
	ds_read_b64 v[0:1], v123
	ds_read2_b64 v[82:85], v133 offset0:98 offset1:196
	ds_read2_b64 v[78:81], v53 offset0:38 offset1:136
	;; [unrolled: 1-line block ×5, first 2 shown]
                                        ; implicit-def: $vgpr130_vgpr131
                                        ; implicit-def: $vgpr52_vgpr53
                                        ; implicit-def: $vgpr60_vgpr61
                                        ; implicit-def: $vgpr68_vgpr69
                                        ; implicit-def: $vgpr72_vgpr73
	s_and_saveexec_b64 s[4:5], s[0:1]
	s_cbranch_execz .LBB0_14
; %bb.13:
	v_add_u32_e32 v2, 0x800, v133
	ds_read2_b64 v[70:73], v2 offset0:17 offset1:115
	v_add_u32_e32 v2, 0xc00, v133
	ds_read2_b64 v[86:89], v133 offset0:77 offset1:175
	ds_read2_b64 v[66:69], v2 offset0:85 offset1:183
	v_add_u32_e32 v2, 0x1000, v133
	ds_read2_b64 v[58:61], v2 offset0:153 offset1:251
	v_add_u32_e32 v2, 0x1800, v133
	ds_read2_b64 v[50:53], v2 offset0:93 offset1:191
	ds_read_b64 v[130:131], v133 offset:8456
	s_waitcnt lgkmcnt(5)
	v_mov_b32_e32 v48, v70
	s_waitcnt lgkmcnt(4)
	v_mov_b32_e32 v46, v88
	v_mov_b32_e32 v2, v86
	;; [unrolled: 1-line block ×5, first 2 shown]
.LBB0_14:
	s_or_b64 exec, exec, s[4:5]
	v_and_b32_e32 v136, 1, v122
	v_mul_u32_u24_e32 v34, 10, v136
	v_lshlrev_b32_e32 v34, 4, v34
	global_load_dwordx4 v[98:101], v34, s[8:9]
	global_load_dwordx4 v[94:97], v34, s[8:9] offset:16
	global_load_dwordx4 v[90:93], v34, s[8:9] offset:32
	global_load_dwordx4 v[86:89], v34, s[8:9] offset:48
	global_load_dwordx4 v[114:117], v34, s[8:9] offset:64
	global_load_dwordx4 v[110:113], v34, s[8:9] offset:80
	global_load_dwordx4 v[106:109], v34, s[8:9] offset:96
	global_load_dwordx4 v[102:105], v34, s[8:9] offset:112
	global_load_dwordx4 v[118:121], v34, s[8:9] offset:144
	global_load_dwordx4 v[137:140], v34, s[8:9] offset:128
	v_and_b32_e32 v135, 1, v132
	v_mul_u32_u24_e32 v34, 10, v135
	v_lshlrev_b32_e32 v34, 4, v34
	global_load_dwordx4 v[141:144], v34, s[8:9]
	global_load_dwordx4 v[145:148], v34, s[8:9] offset:16
	global_load_dwordx4 v[149:152], v34, s[8:9] offset:32
	global_load_dwordx4 v[153:156], v34, s[8:9] offset:48
	global_load_dwordx4 v[157:160], v34, s[8:9] offset:64
	global_load_dwordx4 v[161:164], v34, s[8:9] offset:80
	global_load_dwordx4 v[165:168], v34, s[8:9] offset:96
	global_load_dwordx4 v[169:172], v34, s[8:9] offset:112
	global_load_dwordx4 v[173:176], v34, s[8:9] offset:128
	global_load_dwordx4 v[177:180], v34, s[8:9] offset:144
	s_mov_b32 s10, 0xf8bb580b
	s_mov_b32 s24, 0x8eee2c13
	;; [unrolled: 1-line block ×28, first 2 shown]
	s_waitcnt vmcnt(0) lgkmcnt(0)
	s_barrier
	v_mul_f64 v[34:35], v[82:83], v[100:101]
	v_mul_f64 v[70:71], v[42:43], v[100:101]
	;; [unrolled: 1-line block ×12, first 2 shown]
	v_fma_f64 v[104:105], v[42:43], v[98:99], -v[34:35]
	v_mul_f64 v[116:117], v[30:31], v[116:117]
	v_mul_f64 v[191:192], v[62:63], v[108:109]
	;; [unrolled: 1-line block ×5, first 2 shown]
	v_fma_f64 v[108:109], v[82:83], v[98:99], v[70:71]
	v_fma_f64 v[98:99], v[44:45], v[94:95], -v[100:101]
	v_fma_f64 v[92:93], v[84:85], v[94:95], v[96:97]
	v_fma_f64 v[94:95], v[38:39], v[90:91], -v[181:182]
	;; [unrolled: 2-line block ×3, first 2 shown]
	v_add_f64 v[30:31], v[126:127], v[104:105]
	v_fma_f64 v[100:101], v[14:15], v[137:138], -v[199:200]
	v_fma_f64 v[14:15], v[56:57], v[118:119], v[120:121]
	v_mul_f64 v[185:186], v[80:81], v[88:89]
	v_mul_f64 v[88:89], v[40:41], v[88:89]
	;; [unrolled: 1-line block ×10, first 2 shown]
	v_fma_f64 v[96:97], v[20:21], v[102:103], -v[195:196]
	v_fma_f64 v[20:21], v[54:55], v[137:138], v[139:140]
	v_fma_f64 v[16:17], v[16:17], v[118:119], -v[201:202]
	v_add_f64 v[30:31], v[30:31], v[98:99]
	v_fma_f64 v[56:57], v[8:9], v[145:146], -v[205:206]
	v_add_f64 v[8:9], v[108:109], -v[14:15]
	v_mul_f64 v[189:190], v[76:77], v[112:113]
	v_mul_f64 v[112:113], v[32:33], v[112:113]
	;; [unrolled: 1-line block ×11, first 2 shown]
	v_fma_f64 v[82:83], v[80:81], v[86:87], v[88:89]
	v_fma_f64 v[88:89], v[64:65], v[102:103], v[197:198]
	v_fma_f64 v[64:65], v[6:7], v[141:142], -v[203:204]
	v_fma_f64 v[38:39], v[26:27], v[153:154], -v[209:210]
	v_add_f64 v[6:7], v[30:31], v[94:95]
	v_fma_f64 v[30:31], v[58:59], v[161:162], v[163:164]
	v_fma_f64 v[42:43], v[24:25], v[165:166], -v[215:216]
	v_fma_f64 v[54:55], v[10:11], v[169:170], -v[217:218]
	;; [unrolled: 1-line block ×3, first 2 shown]
	v_add_f64 v[10:11], v[104:105], v[16:17]
	v_add_f64 v[12:13], v[92:93], -v[20:21]
	v_mul_f64 v[24:25], v[8:9], s[10:11]
	v_mul_f64 v[26:27], v[8:9], s[24:25]
	v_fma_f64 v[84:85], v[40:41], v[86:87], -v[185:186]
	v_fma_f64 v[80:81], v[32:33], v[110:111], -v[189:190]
	v_fma_f64 v[76:77], v[76:77], v[110:111], v[112:113]
	v_fma_f64 v[86:87], v[18:19], v[106:107], -v[191:192]
	v_fma_f64 v[18:19], v[62:63], v[106:107], v[193:194]
	v_fma_f64 v[70:71], v[46:47], v[141:142], v[143:144]
	v_fma_f64 v[46:47], v[36:37], v[149:150], -v[207:208]
	v_fma_f64 v[44:45], v[72:73], v[149:150], v[151:152]
	;; [unrolled: 3-line block ×3, first 2 shown]
	v_fma_f64 v[34:35], v[22:23], v[161:162], -v[213:214]
	v_add_f64 v[22:23], v[98:99], v[100:101]
	v_mul_f64 v[66:67], v[8:9], s[14:15]
	v_mul_f64 v[68:69], v[8:9], s[18:19]
	;; [unrolled: 1-line block ×5, first 2 shown]
	v_fma_f64 v[106:107], v[10:11], s[4:5], -v[24:25]
	v_fma_f64 v[110:111], v[10:11], s[6:7], -v[26:27]
	v_fma_f64 v[24:25], v[10:11], s[4:5], v[24:25]
	v_fma_f64 v[74:75], v[74:75], v[114:115], v[116:117]
	;; [unrolled: 1-line block ×3, first 2 shown]
	v_fma_f64 v[112:113], v[10:11], s[12:13], -v[66:67]
	v_fma_f64 v[66:67], v[10:11], s[12:13], v[66:67]
	v_fma_f64 v[114:115], v[10:11], s[16:17], -v[68:69]
	v_fma_f64 v[68:69], v[10:11], s[16:17], v[68:69]
	;; [unrolled: 2-line block ×3, first 2 shown]
	v_fma_f64 v[10:11], v[22:23], s[6:7], -v[72:73]
	v_fma_f64 v[118:119], v[22:23], s[16:17], -v[102:103]
	v_add_f64 v[106:107], v[126:127], v[106:107]
	v_add_f64 v[110:111], v[126:127], v[110:111]
	v_fma_f64 v[72:73], v[22:23], s[6:7], v[72:73]
	v_add_f64 v[24:25], v[126:127], v[24:25]
	v_mul_f64 v[221:222], v[130:131], v[179:180]
	v_mul_f64 v[179:180], v[128:129], v[179:180]
	v_add_f64 v[26:27], v[126:127], v[26:27]
	v_fma_f64 v[62:63], v[48:49], v[145:146], v[147:148]
	v_add_f64 v[10:11], v[10:11], v[106:107]
	v_mul_f64 v[106:107], v[12:13], s[28:29]
	v_add_f64 v[110:111], v[118:119], v[110:111]
	v_add_f64 v[118:119], v[90:91], -v[88:89]
	v_add_f64 v[24:25], v[72:73], v[24:25]
	v_fma_f64 v[72:73], v[22:23], s[16:17], v[102:103]
	v_mul_f64 v[102:103], v[12:13], s[34:35]
	v_mul_f64 v[12:13], v[12:13], s[26:27]
	v_fma_f64 v[40:41], v[60:61], v[165:166], v[167:168]
	v_fma_f64 v[48:49], v[50:51], v[169:170], v[171:172]
	v_fma_f64 v[60:61], v[128:129], v[177:178], -v[221:222]
	v_fma_f64 v[50:51], v[130:131], v[177:178], v[179:180]
	v_add_f64 v[112:113], v[126:127], v[112:113]
	v_add_f64 v[66:67], v[126:127], v[66:67]
	;; [unrolled: 1-line block ×6, first 2 shown]
	v_fma_f64 v[126:127], v[22:23], s[12:13], -v[106:107]
	v_fma_f64 v[106:107], v[22:23], s[12:13], v[106:107]
	v_add_f64 v[128:129], v[94:95], v[96:97]
	v_mul_f64 v[130:131], v[118:119], s[14:15]
	v_fma_f64 v[120:121], v[22:23], s[20:21], -v[102:103]
	v_fma_f64 v[102:103], v[22:23], s[20:21], v[102:103]
	v_add_f64 v[26:27], v[72:73], v[26:27]
	v_fma_f64 v[72:73], v[22:23], s[4:5], -v[12:13]
	v_fma_f64 v[12:13], v[22:23], s[4:5], v[12:13]
	v_add_f64 v[68:69], v[106:107], v[68:69]
	v_mul_f64 v[106:107], v[118:119], s[34:35]
	v_fma_f64 v[22:23], v[128:129], s[12:13], -v[130:131]
	v_add_f64 v[112:113], v[120:121], v[112:113]
	v_add_f64 v[66:67], v[102:103], v[66:67]
	;; [unrolled: 1-line block ×4, first 2 shown]
	v_fma_f64 v[114:115], v[128:129], s[12:13], v[130:131]
	v_mul_f64 v[116:117], v[118:119], s[30:31]
	v_fma_f64 v[120:121], v[128:129], s[20:21], -v[106:107]
	v_fma_f64 v[106:107], v[128:129], s[20:21], v[106:107]
	v_add_f64 v[10:11], v[22:23], v[10:11]
	v_add_f64 v[22:23], v[82:83], -v[18:19]
	v_add_f64 v[8:9], v[12:13], v[8:9]
	v_add_f64 v[6:7], v[6:7], v[84:85]
	;; [unrolled: 1-line block ×3, first 2 shown]
	v_mul_f64 v[24:25], v[118:119], s[10:11]
	v_fma_f64 v[114:115], v[128:129], s[6:7], -v[116:117]
	v_add_f64 v[110:111], v[120:121], v[110:111]
	v_add_f64 v[26:27], v[106:107], v[26:27]
	v_mul_f64 v[106:107], v[118:119], s[18:19]
	v_fma_f64 v[116:117], v[128:129], s[6:7], v[116:117]
	v_add_f64 v[118:119], v[84:85], v[86:87]
	v_mul_f64 v[120:121], v[22:23], s[18:19]
	v_fma_f64 v[126:127], v[128:129], s[4:5], -v[24:25]
	v_add_f64 v[112:113], v[114:115], v[112:113]
	v_fma_f64 v[24:25], v[128:129], s[4:5], v[24:25]
	v_mul_f64 v[114:115], v[22:23], s[28:29]
	v_add_f64 v[6:7], v[6:7], v[78:79]
	v_add_f64 v[66:67], v[116:117], v[66:67]
	v_fma_f64 v[130:131], v[128:129], s[16:17], -v[106:107]
	v_fma_f64 v[116:117], v[118:119], s[16:17], -v[120:121]
	v_fma_f64 v[106:107], v[128:129], s[16:17], v[106:107]
	v_add_f64 v[102:103], v[126:127], v[102:103]
	v_add_f64 v[24:25], v[24:25], v[68:69]
	v_fma_f64 v[68:69], v[118:119], s[12:13], -v[114:115]
	v_mul_f64 v[126:127], v[22:23], s[10:11]
	v_add_f64 v[6:7], v[6:7], v[80:81]
	v_fma_f64 v[120:121], v[118:119], s[16:17], v[120:121]
	v_add_f64 v[10:11], v[116:117], v[10:11]
	v_add_f64 v[116:117], v[74:75], -v[76:77]
	v_add_f64 v[8:9], v[106:107], v[8:9]
	v_mul_f64 v[106:107], v[22:23], s[22:23]
	v_add_f64 v[68:69], v[68:69], v[110:111]
	v_fma_f64 v[110:111], v[118:119], s[12:13], v[114:115]
	v_fma_f64 v[114:115], v[118:119], s[4:5], -v[126:127]
	v_mul_f64 v[22:23], v[22:23], s[30:31]
	v_add_f64 v[72:73], v[130:131], v[72:73]
	v_add_f64 v[128:129], v[78:79], v[80:81]
	v_mul_f64 v[130:131], v[116:117], s[22:23]
	v_add_f64 v[6:7], v[6:7], v[86:87]
	v_add_f64 v[12:13], v[120:121], v[12:13]
	v_fma_f64 v[120:121], v[118:119], s[4:5], v[126:127]
	v_fma_f64 v[126:127], v[118:119], s[20:21], -v[106:107]
	v_fma_f64 v[106:107], v[118:119], s[20:21], v[106:107]
	v_add_f64 v[26:27], v[110:111], v[26:27]
	v_add_f64 v[110:111], v[114:115], v[112:113]
	v_fma_f64 v[112:113], v[118:119], s[6:7], -v[22:23]
	v_fma_f64 v[22:23], v[118:119], s[6:7], v[22:23]
	v_fma_f64 v[114:115], v[128:129], s[20:21], -v[130:131]
	v_add_f64 v[6:7], v[6:7], v[96:97]
	v_mul_f64 v[118:119], v[116:117], s[26:27]
	v_add_f64 v[24:25], v[106:107], v[24:25]
	v_fma_f64 v[106:107], v[128:129], s[20:21], v[130:131]
	v_add_f64 v[66:67], v[120:121], v[66:67]
	v_add_f64 v[72:73], v[112:113], v[72:73]
	v_mul_f64 v[112:113], v[116:117], s[18:19]
	v_add_f64 v[8:9], v[22:23], v[8:9]
	v_mul_f64 v[22:23], v[116:117], s[30:31]
	;; [unrolled: 2-line block ×3, first 2 shown]
	v_add_f64 v[6:7], v[6:7], v[100:101]
	v_add_f64 v[12:13], v[106:107], v[12:13]
	v_fma_f64 v[106:107], v[128:129], s[4:5], -v[118:119]
	v_fma_f64 v[116:117], v[128:129], s[4:5], v[118:119]
	v_fma_f64 v[118:119], v[128:129], s[16:17], -v[112:113]
	v_add_f64 v[102:103], v[126:127], v[102:103]
	v_fma_f64 v[120:121], v[128:129], s[6:7], -v[22:23]
	v_fma_f64 v[22:23], v[128:129], s[6:7], v[22:23]
	v_fma_f64 v[126:127], v[128:129], s[12:13], -v[114:115]
	v_fma_f64 v[114:115], v[128:129], s[12:13], v[114:115]
	v_fma_f64 v[112:113], v[128:129], s[16:17], v[112:113]
	v_add_f64 v[6:7], v[6:7], v[16:17]
	v_fma_f64 v[52:53], v[52:53], v[173:174], v[175:176]
	v_add_f64 v[68:69], v[106:107], v[68:69]
	v_add_f64 v[106:107], v[118:119], v[110:111]
	;; [unrolled: 1-line block ×6, first 2 shown]
	v_lshrrev_b32_e32 v72, 1, v122
	v_add_f64 v[26:27], v[116:117], v[26:27]
	v_add_f64 v[66:67], v[112:113], v[66:67]
	v_mul_u32_u24_e32 v72, 22, v72
	v_or_b32_e32 v72, v72, v136
	v_lshlrev_b32_e32 v72, 3, v72
	v_add3_u32 v102, 0, v72, v134
	ds_write2_b64 v102, v[6:7], v[10:11] offset1:2
	ds_write2_b64 v102, v[68:69], v[106:107] offset0:4 offset1:6
	ds_write2_b64 v102, v[110:111], v[24:25] offset0:8 offset1:10
	;; [unrolled: 1-line block ×4, first 2 shown]
	ds_write_b64 v102, v[12:13] offset:160
	v_lshrrev_b32_e32 v68, 1, v132
	s_and_saveexec_b64 s[36:37], s[0:1]
	s_cbranch_execz .LBB0_16
; %bb.15:
	v_add_f64 v[6:7], v[70:71], -v[50:51]
	v_add_f64 v[24:25], v[62:63], -v[52:53]
	v_add_f64 v[26:27], v[64:65], v[60:61]
	v_add_f64 v[106:107], v[44:45], -v[48:49]
	v_add_f64 v[110:111], v[56:57], v[58:59]
	;; [unrolled: 2-line block ×3, first 2 shown]
	v_add_f64 v[10:11], v[28:29], -v[30:31]
	v_mul_f64 v[66:67], v[6:7], s[22:23]
	v_mul_f64 v[114:115], v[6:7], s[18:19]
	;; [unrolled: 1-line block ×5, first 2 shown]
	v_add_f64 v[12:13], v[38:39], v[42:43]
	v_mul_f64 v[118:119], v[22:23], s[30:31]
	v_add_f64 v[8:9], v[32:33], v[34:35]
	v_fma_f64 v[120:121], v[26:27], s[20:21], v[66:67]
	v_fma_f64 v[66:67], v[26:27], s[20:21], -v[66:67]
	v_fma_f64 v[136:137], v[26:27], s[16:17], v[114:115]
	v_fma_f64 v[138:139], v[110:111], s[4:5], v[116:117]
	v_fma_f64 v[116:117], v[110:111], s[4:5], -v[116:117]
	v_fma_f64 v[144:145], v[110:111], s[12:13], v[130:131]
	v_fma_f64 v[146:147], v[72:73], s[16:17], v[126:127]
	v_fma_f64 v[126:127], v[72:73], s[16:17], -v[126:127]
	v_add_f64 v[120:121], v[4:5], v[120:121]
	v_add_f64 v[66:67], v[4:5], v[66:67]
	;; [unrolled: 1-line block ×3, first 2 shown]
	v_mul_f64 v[112:113], v[10:11], s[14:15]
	v_mul_f64 v[142:143], v[106:107], s[10:11]
	v_fma_f64 v[114:115], v[26:27], s[16:17], -v[114:115]
	v_mul_f64 v[140:141], v[22:23], s[22:23]
	v_mul_f64 v[128:129], v[10:11], s[30:31]
	v_add_f64 v[120:121], v[138:139], v[120:121]
	v_add_f64 v[66:67], v[116:117], v[66:67]
	v_mul_f64 v[138:139], v[6:7], s[14:15]
	v_add_f64 v[136:137], v[144:145], v[136:137]
	v_fma_f64 v[144:145], v[12:13], s[6:7], v[118:119]
	v_fma_f64 v[118:119], v[12:13], s[6:7], -v[118:119]
	v_mul_f64 v[116:117], v[24:25], s[34:35]
	v_fma_f64 v[148:149], v[72:73], s[4:5], v[142:143]
	v_add_f64 v[120:121], v[146:147], v[120:121]
	v_add_f64 v[66:67], v[126:127], v[66:67]
	v_fma_f64 v[126:127], v[8:9], s[12:13], v[112:113]
	v_fma_f64 v[112:113], v[8:9], s[12:13], -v[112:113]
	v_add_f64 v[114:115], v[4:5], v[114:115]
	v_fma_f64 v[146:147], v[12:13], s[20:21], v[140:141]
	v_fma_f64 v[142:143], v[72:73], s[4:5], -v[142:143]
	v_add_f64 v[136:137], v[148:149], v[136:137]
	v_add_f64 v[120:121], v[144:145], v[120:121]
	;; [unrolled: 1-line block ×3, first 2 shown]
	v_fma_f64 v[118:119], v[110:111], s[12:13], -v[130:131]
	v_fma_f64 v[130:131], v[26:27], s[12:13], v[138:139]
	v_mul_f64 v[144:145], v[106:107], s[30:31]
	v_fma_f64 v[148:149], v[8:9], s[6:7], v[128:129]
	v_fma_f64 v[138:139], v[26:27], s[12:13], -v[138:139]
	v_add_f64 v[136:137], v[146:147], v[136:137]
	v_add_f64 v[120:121], v[126:127], v[120:121]
	;; [unrolled: 1-line block ×3, first 2 shown]
	v_fma_f64 v[112:113], v[110:111], s[20:21], v[116:117]
	v_add_f64 v[126:127], v[4:5], v[130:131]
	v_add_f64 v[114:115], v[118:119], v[114:115]
	v_fma_f64 v[130:131], v[12:13], s[20:21], -v[140:141]
	v_fma_f64 v[140:141], v[72:73], s[6:7], v[144:145]
	v_add_f64 v[118:119], v[148:149], v[136:137]
	v_mul_f64 v[136:137], v[22:23], s[10:11]
	v_mul_f64 v[146:147], v[6:7], s[24:25]
	;; [unrolled: 1-line block ×3, first 2 shown]
	v_add_f64 v[112:113], v[112:113], v[126:127]
	v_add_f64 v[114:115], v[142:143], v[114:115]
	;; [unrolled: 1-line block ×3, first 2 shown]
	v_fma_f64 v[116:117], v[110:111], s[20:21], -v[116:117]
	v_add_f64 v[138:139], v[4:5], v[138:139]
	v_fma_f64 v[148:149], v[12:13], s[4:5], v[136:137]
	v_mul_f64 v[152:153], v[22:23], s[28:29]
	v_fma_f64 v[156:157], v[26:27], s[4:5], -v[6:7]
	v_add_f64 v[112:113], v[140:141], v[112:113]
	v_add_f64 v[114:115], v[130:131], v[114:115]
	;; [unrolled: 1-line block ×3, first 2 shown]
	v_fma_f64 v[130:131], v[72:73], s[6:7], -v[144:145]
	v_mul_f64 v[142:143], v[24:25], s[18:19]
	v_fma_f64 v[144:145], v[26:27], s[6:7], v[146:147]
	v_mul_f64 v[24:25], v[24:25], s[24:25]
	v_fma_f64 v[146:147], v[26:27], s[6:7], -v[146:147]
	v_add_f64 v[112:113], v[148:149], v[112:113]
	v_mul_f64 v[148:149], v[106:107], s[34:35]
	v_add_f64 v[140:141], v[140:141], v[46:47]
	v_fma_f64 v[6:7], v[26:27], s[4:5], v[6:7]
	v_fma_f64 v[150:151], v[110:111], s[16:17], v[142:143]
	v_add_f64 v[144:145], v[4:5], v[144:145]
	v_fma_f64 v[26:27], v[110:111], s[16:17], -v[142:143]
	v_mul_f64 v[106:107], v[106:107], s[14:15]
	v_fma_f64 v[142:143], v[110:111], s[6:7], -v[24:25]
	v_fma_f64 v[154:155], v[72:73], s[20:21], v[148:149]
	v_add_f64 v[140:141], v[140:141], v[38:39]
	v_add_f64 v[146:147], v[4:5], v[146:147]
	v_fma_f64 v[24:25], v[110:111], s[6:7], v[24:25]
	v_add_f64 v[144:145], v[150:151], v[144:145]
	v_add_f64 v[116:117], v[116:117], v[138:139]
	v_mul_f64 v[22:23], v[22:23], s[18:19]
	v_fma_f64 v[110:111], v[72:73], s[12:13], -v[106:107]
	v_mul_f64 v[126:127], v[10:11], s[18:19]
	v_add_f64 v[140:141], v[140:141], v[32:33]
	v_add_f64 v[26:27], v[26:27], v[146:147]
	v_fma_f64 v[136:137], v[12:13], s[4:5], -v[136:137]
	v_add_f64 v[144:145], v[154:155], v[144:145]
	v_add_f64 v[154:155], v[4:5], v[156:157]
	;; [unrolled: 1-line block ×3, first 2 shown]
	v_fma_f64 v[6:7], v[72:73], s[20:21], -v[148:149]
	v_fma_f64 v[72:73], v[72:73], s[12:13], v[106:107]
	v_add_f64 v[140:141], v[140:141], v[34:35]
	v_add_f64 v[116:117], v[130:131], v[116:117]
	v_mul_f64 v[130:131], v[10:11], s[26:27]
	v_mul_f64 v[10:11], v[10:11], s[22:23]
	v_add_f64 v[142:143], v[142:143], v[154:155]
	v_add_f64 v[4:5], v[24:25], v[4:5]
	v_fma_f64 v[106:107], v[12:13], s[16:17], -v[22:23]
	v_fma_f64 v[24:25], v[12:13], s[12:13], -v[152:153]
	v_add_f64 v[140:141], v[140:141], v[42:43]
	v_add_f64 v[6:7], v[6:7], v[26:27]
	v_fma_f64 v[150:151], v[12:13], s[12:13], v[152:153]
	v_fma_f64 v[12:13], v[12:13], s[16:17], v[22:23]
	v_add_f64 v[110:111], v[110:111], v[142:143]
	v_add_f64 v[4:5], v[72:73], v[4:5]
	v_fma_f64 v[72:73], v[8:9], s[20:21], -v[10:11]
	v_fma_f64 v[138:139], v[8:9], s[16:17], v[126:127]
	v_add_f64 v[140:141], v[140:141], v[54:55]
	v_fma_f64 v[126:127], v[8:9], s[16:17], -v[126:127]
	v_add_f64 v[116:117], v[136:137], v[116:117]
	v_fma_f64 v[26:27], v[8:9], s[4:5], -v[130:131]
	v_add_f64 v[106:107], v[106:107], v[110:111]
	v_add_f64 v[6:7], v[24:25], v[6:7]
	v_fma_f64 v[128:129], v[8:9], s[6:7], -v[128:129]
	v_fma_f64 v[136:137], v[8:9], s[4:5], v[130:131]
	v_add_f64 v[110:111], v[140:141], v[58:59]
	v_add_f64 v[22:23], v[150:151], v[144:145]
	v_fma_f64 v[8:9], v[8:9], s[20:21], v[10:11]
	v_add_f64 v[4:5], v[12:13], v[4:5]
	v_add_f64 v[72:73], v[72:73], v[106:107]
	;; [unrolled: 1-line block ×9, first 2 shown]
	v_mul_u32_u24_e32 v8, 22, v68
	v_or_b32_e32 v8, v8, v135
	v_lshlrev_b32_e32 v8, 3, v8
	v_add3_u32 v8, 0, v8, v134
	ds_write2_b64 v8, v[106:107], v[72:73] offset1:2
	ds_write2_b64 v8, v[6:7], v[24:25] offset0:4 offset1:6
	ds_write2_b64 v8, v[10:11], v[66:67] offset0:8 offset1:10
	;; [unrolled: 1-line block ×4, first 2 shown]
	ds_write_b64 v8, v[4:5] offset:160
.LBB0_16:
	s_or_b64 exec, exec, s[36:37]
	v_add_f64 v[4:5], v[0:1], v[108:109]
	v_add_f64 v[6:7], v[104:105], -v[16:17]
	v_add_f64 v[8:9], v[108:109], v[14:15]
	v_add_f64 v[12:13], v[98:99], -v[100:101]
	;; [unrolled: 2-line block ×3, first 2 shown]
	v_add_f64 v[16:17], v[90:91], v[88:89]
	v_add_u32_e32 v69, 0x400, v133
	v_add_f64 v[4:5], v[4:5], v[92:93]
	v_mul_f64 v[24:25], v[6:7], s[10:11]
	v_mul_f64 v[26:27], v[6:7], s[24:25]
	;; [unrolled: 1-line block ×7, first 2 shown]
	v_add_f64 v[4:5], v[4:5], v[90:91]
	v_fma_f64 v[105:106], v[8:9], s[4:5], v[24:25]
	v_fma_f64 v[24:25], v[8:9], s[4:5], -v[24:25]
	v_mul_f64 v[96:97], v[12:13], s[34:35]
	v_mul_f64 v[90:91], v[12:13], s[28:29]
	;; [unrolled: 1-line block ×4, first 2 shown]
	v_fma_f64 v[107:108], v[8:9], s[6:7], v[26:27]
	v_add_f64 v[4:5], v[4:5], v[82:83]
	v_fma_f64 v[26:27], v[8:9], s[6:7], -v[26:27]
	v_fma_f64 v[109:110], v[8:9], s[12:13], v[66:67]
	v_fma_f64 v[66:67], v[8:9], s[12:13], -v[66:67]
	v_fma_f64 v[111:112], v[8:9], s[16:17], v[72:73]
	;; [unrolled: 2-line block ×3, first 2 shown]
	v_fma_f64 v[6:7], v[8:9], s[20:21], -v[6:7]
	v_add_f64 v[4:5], v[4:5], v[74:75]
	v_fma_f64 v[8:9], v[10:11], s[6:7], v[92:93]
	v_fma_f64 v[92:93], v[10:11], s[6:7], -v[92:93]
	v_add_f64 v[105:106], v[0:1], v[105:106]
	v_add_f64 v[24:25], v[0:1], v[24:25]
	v_fma_f64 v[115:116], v[10:11], s[16:17], v[94:95]
	v_fma_f64 v[94:95], v[10:11], s[16:17], -v[94:95]
	v_fma_f64 v[117:118], v[10:11], s[20:21], v[96:97]
	v_add_f64 v[4:5], v[4:5], v[76:77]
	v_fma_f64 v[96:97], v[10:11], s[20:21], -v[96:97]
	v_fma_f64 v[119:120], v[10:11], s[12:13], v[90:91]
	v_fma_f64 v[90:91], v[10:11], s[12:13], -v[90:91]
	v_fma_f64 v[126:127], v[10:11], s[4:5], v[12:13]
	;; [unrolled: 2-line block ×3, first 2 shown]
	v_fma_f64 v[98:99], v[16:17], s[12:13], -v[98:99]
	v_add_f64 v[4:5], v[4:5], v[18:19]
	v_add_f64 v[107:108], v[0:1], v[107:108]
	v_add_f64 v[26:27], v[0:1], v[26:27]
	v_add_f64 v[109:110], v[0:1], v[109:110]
	v_add_f64 v[66:67], v[0:1], v[66:67]
	v_add_f64 v[72:73], v[0:1], v[72:73]
	v_mul_f64 v[100:101], v[22:23], s[34:35]
	v_mul_f64 v[103:104], v[22:23], s[30:31]
	v_add_f64 v[4:5], v[4:5], v[88:89]
	v_add_f64 v[88:89], v[0:1], v[111:112]
	;; [unrolled: 1-line block ×6, first 2 shown]
	v_fma_f64 v[128:129], v[16:17], s[20:21], v[100:101]
	v_add_f64 v[24:25], v[115:116], v[107:108]
	v_add_f64 v[4:5], v[4:5], v[20:21]
	;; [unrolled: 1-line block ×5, first 2 shown]
	v_mul_f64 v[10:11], v[22:23], s[10:11]
	v_mul_f64 v[22:23], v[22:23], s[18:19]
	v_add_f64 v[26:27], v[117:118], v[109:110]
	v_fma_f64 v[100:101], v[16:17], s[20:21], -v[100:101]
	v_add_f64 v[92:93], v[4:5], v[14:15]
	v_add_f64 v[4:5], v[12:13], v[6:7]
	;; [unrolled: 1-line block ×3, first 2 shown]
	v_add_f64 v[8:9], v[84:85], -v[86:87]
	v_fma_f64 v[12:13], v[16:17], s[6:7], v[103:104]
	v_add_f64 v[14:15], v[128:129], v[24:25]
	v_fma_f64 v[24:25], v[16:17], s[6:7], -v[103:104]
	v_fma_f64 v[84:85], v[16:17], s[4:5], v[10:11]
	v_fma_f64 v[10:11], v[16:17], s[4:5], -v[10:11]
	v_fma_f64 v[86:87], v[16:17], s[16:17], v[22:23]
	v_fma_f64 v[16:17], v[16:17], s[16:17], -v[22:23]
	v_mul_f64 v[82:83], v[8:9], s[18:19]
	v_add_f64 v[66:67], v[96:97], v[66:67]
	v_add_f64 v[88:89], v[119:120], v[88:89]
	;; [unrolled: 1-line block ×5, first 2 shown]
	v_mul_f64 v[26:27], v[8:9], s[28:29]
	v_add_f64 v[0:1], v[16:17], v[0:1]
	v_fma_f64 v[22:23], v[18:19], s[16:17], v[82:83]
	v_mul_f64 v[16:17], v[8:9], s[22:23]
	v_add_f64 v[20:21], v[100:101], v[20:21]
	v_add_f64 v[24:25], v[24:25], v[66:67]
	;; [unrolled: 1-line block ×4, first 2 shown]
	v_fma_f64 v[72:73], v[18:19], s[12:13], v[26:27]
	v_add_f64 v[84:85], v[86:87], v[90:91]
	v_add_f64 v[4:5], v[22:23], v[4:5]
	v_add_f64 v[22:23], v[78:79], -v[80:81]
	v_mul_f64 v[86:87], v[8:9], s[10:11]
	v_fma_f64 v[26:27], v[18:19], s[12:13], -v[26:27]
	v_mul_f64 v[8:9], v[8:9], s[30:31]
	v_fma_f64 v[80:81], v[18:19], s[20:21], v[16:17]
	v_add_f64 v[74:75], v[74:75], v[76:77]
	v_fma_f64 v[82:83], v[18:19], s[16:17], -v[82:83]
	v_add_f64 v[14:15], v[72:73], v[14:15]
	v_mul_f64 v[76:77], v[22:23], s[22:23]
	v_fma_f64 v[72:73], v[18:19], s[4:5], v[86:87]
	v_fma_f64 v[16:17], v[18:19], s[20:21], -v[16:17]
	v_add_f64 v[20:21], v[26:27], v[20:21]
	v_fma_f64 v[26:27], v[18:19], s[6:7], v[8:9]
	v_fma_f64 v[8:9], v[18:19], s[6:7], -v[8:9]
	v_fma_f64 v[78:79], v[18:19], s[4:5], -v[86:87]
	v_add_f64 v[18:19], v[80:81], v[66:67]
	v_fma_f64 v[66:67], v[74:75], s[20:21], v[76:77]
	v_add_f64 v[6:7], v[82:83], v[6:7]
	v_add_f64 v[12:13], v[72:73], v[12:13]
	;; [unrolled: 1-line block ×3, first 2 shown]
	v_fma_f64 v[16:17], v[74:75], s[20:21], -v[76:77]
	v_mul_f64 v[72:73], v[22:23], s[26:27]
	v_mul_f64 v[76:77], v[22:23], s[18:19]
	v_add_f64 v[0:1], v[8:9], v[0:1]
	v_mul_f64 v[8:9], v[22:23], s[30:31]
	v_add_f64 v[24:25], v[78:79], v[24:25]
	v_add_f64 v[78:79], v[66:67], v[4:5]
	v_mul_f64 v[4:5], v[22:23], s[14:15]
	v_add_f64 v[80:81], v[16:17], v[6:7]
	v_fma_f64 v[6:7], v[74:75], s[4:5], v[72:73]
	v_fma_f64 v[16:17], v[74:75], s[4:5], -v[72:73]
	v_fma_f64 v[22:23], v[74:75], s[16:17], v[76:77]
	v_fma_f64 v[72:73], v[74:75], s[6:7], v[8:9]
	v_add_f64 v[26:27], v[26:27], v[84:85]
	v_fma_f64 v[66:67], v[74:75], s[16:17], -v[76:77]
	v_fma_f64 v[8:9], v[74:75], s[6:7], -v[8:9]
	v_fma_f64 v[76:77], v[74:75], s[12:13], v[4:5]
	v_fma_f64 v[4:5], v[74:75], s[12:13], -v[4:5]
	v_add_f64 v[82:83], v[6:7], v[14:15]
	v_add_f64 v[86:87], v[22:23], v[12:13]
	;; [unrolled: 1-line block ×3, first 2 shown]
	v_add_u32_e32 v72, 0x800, v133
	v_add_u32_e32 v73, 0x1000, v133
	;; [unrolled: 1-line block ×4, first 2 shown]
	v_add_f64 v[84:85], v[16:17], v[20:21]
	v_add_f64 v[88:89], v[66:67], v[24:25]
	;; [unrolled: 1-line block ×5, first 2 shown]
	s_waitcnt lgkmcnt(0)
	s_barrier
	ds_read2_b64 v[4:7], v133 offset0:77 offset1:154
	ds_read2_b64 v[8:11], v69 offset0:103 offset1:180
	;; [unrolled: 1-line block ×6, first 2 shown]
	ds_read_b64 v[66:67], v123
	ds_read_b64 v[0:1], v133 offset:8008
	s_waitcnt lgkmcnt(0)
	s_barrier
	ds_write2_b64 v102, v[92:93], v[78:79] offset1:2
	ds_write2_b64 v102, v[82:83], v[86:87] offset0:4 offset1:6
	ds_write2_b64 v102, v[90:91], v[76:77] offset0:8 offset1:10
	;; [unrolled: 1-line block ×4, first 2 shown]
	ds_write_b64 v102, v[80:81] offset:160
	s_and_saveexec_b64 s[4:5], s[0:1]
	s_cbranch_execz .LBB0_18
; %bb.17:
	v_add_f64 v[76:77], v[2:3], v[70:71]
	v_add_f64 v[60:61], v[64:65], -v[60:61]
	v_add_f64 v[56:57], v[56:57], -v[58:59]
	s_mov_b32 s18, 0xf8bb580b
	s_mov_b32 s19, 0xbfe14ced
	;; [unrolled: 1-line block ×4, first 2 shown]
	v_add_f64 v[70:71], v[70:71], v[50:51]
	v_add_f64 v[64:65], v[76:77], v[62:63]
	v_mul_f64 v[76:77], v[60:61], s[10:11]
	v_mul_f64 v[78:79], v[60:61], s[14:15]
	s_mov_b32 s20, 0xbb3a28a1
	s_mov_b32 s0, 0x8764f0ba
	;; [unrolled: 1-line block ×5, first 2 shown]
	v_add_f64 v[64:65], v[64:65], v[44:45]
	s_mov_b32 s25, 0xbfd207e7
	s_mov_b32 s31, 0x3fd207e7
	;; [unrolled: 1-line block ×3, first 2 shown]
	v_mul_f64 v[80:81], v[60:61], s[20:21]
	v_add_f64 v[62:63], v[62:63], v[52:53]
	v_mul_f64 v[82:83], v[56:57], s[10:11]
	v_mul_f64 v[84:85], v[56:57], s[20:21]
	v_add_f64 v[64:65], v[64:65], v[36:37]
	v_mul_f64 v[86:87], v[56:57], s[30:31]
	v_fma_f64 v[92:93], v[70:71], s[6:7], v[76:77]
	v_fma_f64 v[76:77], v[70:71], s[6:7], -v[76:77]
	v_fma_f64 v[94:95], v[70:71], s[12:13], v[78:79]
	v_fma_f64 v[78:79], v[70:71], s[12:13], -v[78:79]
	s_mov_b32 s22, 0x9bcd5057
	s_mov_b32 s28, s14
	v_add_f64 v[58:59], v[64:65], v[28:29]
	v_mul_f64 v[64:65], v[60:61], s[18:19]
	v_mul_f64 v[60:61], v[60:61], s[24:25]
	s_mov_b32 s23, 0xbfeeb42a
	v_mul_f64 v[88:89], v[56:57], s[28:29]
	v_fma_f64 v[96:97], v[70:71], s[16:17], v[80:81]
	v_add_f64 v[46:47], v[46:47], -v[54:55]
	s_mov_b32 s26, s18
	v_add_f64 v[58:59], v[58:59], v[30:31]
	v_fma_f64 v[90:91], v[70:71], s[0:1], v[64:65]
	v_fma_f64 v[64:65], v[70:71], s[0:1], -v[64:65]
	v_fma_f64 v[80:81], v[70:71], s[16:17], -v[80:81]
	v_fma_f64 v[98:99], v[70:71], s[22:23], v[60:61]
	v_fma_f64 v[60:61], v[70:71], s[22:23], -v[60:61]
	v_fma_f64 v[70:71], v[62:63], s[6:7], v[82:83]
	v_fma_f64 v[82:83], v[62:63], s[6:7], -v[82:83]
	v_add_f64 v[58:59], v[58:59], v[40:41]
	v_add_f64 v[76:77], v[2:3], v[76:77]
	;; [unrolled: 1-line block ×4, first 2 shown]
	v_mul_f64 v[54:55], v[56:57], s[26:27]
	v_fma_f64 v[56:57], v[62:63], s[22:23], -v[86:87]
	v_fma_f64 v[100:101], v[62:63], s[16:17], v[84:85]
	v_add_f64 v[90:91], v[2:3], v[90:91]
	v_add_f64 v[58:59], v[58:59], v[48:49]
	;; [unrolled: 1-line block ×3, first 2 shown]
	v_mul_f64 v[48:49], v[46:47], s[14:15]
	v_add_f64 v[92:93], v[2:3], v[92:93]
	v_add_f64 v[80:81], v[2:3], v[80:81]
	;; [unrolled: 1-line block ×3, first 2 shown]
	v_fma_f64 v[82:83], v[62:63], s[22:23], v[86:87]
	v_fma_f64 v[86:87], v[62:63], s[0:1], v[54:55]
	v_add_f64 v[52:53], v[58:59], v[52:53]
	v_add_f64 v[58:59], v[2:3], v[96:97]
	;; [unrolled: 1-line block ×4, first 2 shown]
	v_mul_f64 v[78:79], v[46:47], s[30:31]
	s_mov_b32 s11, 0x3fed1bb4
	v_add_f64 v[94:95], v[2:3], v[94:95]
	v_add_f64 v[2:3], v[2:3], v[60:61]
	v_add_f64 v[50:51], v[52:53], v[50:51]
	v_fma_f64 v[52:53], v[62:63], s[16:17], -v[84:85]
	v_fma_f64 v[84:85], v[62:63], s[12:13], v[88:89]
	v_add_f64 v[60:61], v[70:71], v[90:91]
	v_fma_f64 v[54:55], v[62:63], s[0:1], -v[54:55]
	v_add_f64 v[38:39], v[38:39], -v[42:43]
	v_add_f64 v[70:71], v[100:101], v[92:93]
	v_mul_f64 v[42:43], v[46:47], s[18:19]
	v_add_f64 v[82:83], v[82:83], v[94:95]
	v_add_f64 v[52:53], v[52:53], v[76:77]
	v_fma_f64 v[76:77], v[62:63], s[12:13], -v[88:89]
	v_add_f64 v[58:59], v[84:85], v[58:59]
	v_fma_f64 v[62:63], v[44:45], s[12:13], v[48:49]
	v_mul_f64 v[84:85], v[46:47], s[10:11]
	v_fma_f64 v[48:49], v[44:45], s[12:13], -v[48:49]
	v_add_f64 v[2:3], v[54:55], v[2:3]
	v_mul_f64 v[46:47], v[46:47], s[20:21]
	v_add_f64 v[36:37], v[36:37], v[40:41]
	v_add_f64 v[76:77], v[76:77], v[80:81]
	;; [unrolled: 1-line block ×3, first 2 shown]
	v_fma_f64 v[86:87], v[44:45], s[22:23], v[78:79]
	v_fma_f64 v[78:79], v[44:45], s[22:23], -v[78:79]
	v_add_f64 v[54:55], v[62:63], v[60:61]
	v_fma_f64 v[60:61], v[44:45], s[6:7], v[84:85]
	v_mul_f64 v[40:41], v[38:39], s[20:21]
	v_add_f64 v[48:49], v[48:49], v[64:65]
	v_fma_f64 v[64:65], v[44:45], s[6:7], -v[84:85]
	v_add_f64 v[32:33], v[32:33], -v[34:35]
	v_add_f64 v[62:63], v[86:87], v[70:71]
	v_fma_f64 v[70:71], v[44:45], s[0:1], v[42:43]
	v_fma_f64 v[42:43], v[44:45], s[0:1], -v[42:43]
	v_add_f64 v[52:53], v[78:79], v[52:53]
	v_add_f64 v[60:61], v[60:61], v[82:83]
	v_mul_f64 v[78:79], v[38:39], s[28:29]
	v_fma_f64 v[82:83], v[44:45], s[16:17], v[46:47]
	v_fma_f64 v[44:45], v[44:45], s[16:17], -v[46:47]
	v_fma_f64 v[46:47], v[36:37], s[16:17], v[40:41]
	v_fma_f64 v[40:41], v[36:37], s[16:17], -v[40:41]
	v_add_f64 v[42:43], v[42:43], v[76:77]
	v_mul_f64 v[76:77], v[38:39], s[18:19]
	v_add_f64 v[56:57], v[64:65], v[56:57]
	v_fma_f64 v[64:65], v[36:37], s[12:13], v[78:79]
	v_add_f64 v[58:59], v[70:71], v[58:59]
	v_add_f64 v[2:3], v[44:45], v[2:3]
	;; [unrolled: 1-line block ×3, first 2 shown]
	v_mul_f64 v[46:47], v[38:39], s[24:25]
	v_add_f64 v[40:41], v[40:41], v[48:49]
	v_fma_f64 v[48:49], v[36:37], s[12:13], -v[78:79]
	v_fma_f64 v[54:55], v[36:37], s[0:1], v[76:77]
	v_mul_f64 v[38:39], v[38:39], s[10:11]
	v_add_f64 v[34:35], v[64:65], v[62:63]
	v_add_f64 v[28:29], v[28:29], v[30:31]
	v_mul_f64 v[30:31], v[32:33], s[24:25]
	v_fma_f64 v[64:65], v[36:37], s[22:23], v[46:47]
	v_fma_f64 v[46:47], v[36:37], s[22:23], -v[46:47]
	v_fma_f64 v[62:63], v[36:37], s[0:1], -v[76:77]
	v_add_f64 v[48:49], v[48:49], v[52:53]
	v_add_f64 v[52:53], v[54:55], v[60:61]
	v_fma_f64 v[54:55], v[36:37], s[6:7], v[38:39]
	v_fma_f64 v[36:37], v[36:37], s[6:7], -v[38:39]
	v_mul_f64 v[60:61], v[32:33], s[20:21]
	v_add_f64 v[38:39], v[64:65], v[58:59]
	v_fma_f64 v[58:59], v[28:29], s[22:23], v[30:31]
	v_add_f64 v[42:43], v[46:47], v[42:43]
	v_fma_f64 v[30:31], v[28:29], s[22:23], -v[30:31]
	v_mul_f64 v[46:47], v[32:33], s[26:27]
	v_add_f64 v[70:71], v[82:83], v[80:81]
	v_add_f64 v[2:3], v[36:37], v[2:3]
	v_mul_f64 v[36:37], v[32:33], s[10:11]
	v_mul_f64 v[32:33], v[32:33], s[14:15]
	v_add_f64 v[44:45], v[58:59], v[44:45]
	v_fma_f64 v[58:59], v[28:29], s[16:17], v[60:61]
	v_add_f64 v[30:31], v[30:31], v[40:41]
	v_fma_f64 v[40:41], v[28:29], s[0:1], v[46:47]
	v_add_f64 v[56:57], v[62:63], v[56:57]
	v_add_f64 v[54:55], v[54:55], v[70:71]
	v_fma_f64 v[62:63], v[28:29], s[6:7], v[36:37]
	v_fma_f64 v[36:37], v[28:29], s[6:7], -v[36:37]
	v_fma_f64 v[64:65], v[28:29], s[12:13], v[32:33]
	v_fma_f64 v[46:47], v[28:29], s[0:1], -v[46:47]
	v_fma_f64 v[60:61], v[28:29], s[16:17], -v[60:61]
	v_fma_f64 v[28:29], v[28:29], s[12:13], -v[32:33]
	v_add_f64 v[32:33], v[40:41], v[34:35]
	v_add_f64 v[40:41], v[58:59], v[52:53]
	;; [unrolled: 1-line block ×8, first 2 shown]
	v_mul_u32_u24_e32 v28, 22, v68
	v_or_b32_e32 v28, v28, v135
	v_lshlrev_b32_e32 v28, 3, v28
	v_add3_u32 v28, 0, v28, v134
	ds_write2_b64 v28, v[50:51], v[44:45] offset1:2
	ds_write2_b64 v28, v[32:33], v[40:41] offset0:4 offset1:6
	ds_write2_b64 v28, v[38:39], v[42:43] offset0:8 offset1:10
	;; [unrolled: 1-line block ×4, first 2 shown]
	ds_write_b64 v28, v[30:31] offset:160
.LBB0_18:
	s_or_b64 exec, exec, s[4:5]
	v_lshrrev_b16_e32 v2, 1, v122
	v_and_b32_e32 v2, 0x7f, v2
	v_mul_lo_u16_e32 v2, 0xbb, v2
	v_lshrrev_b16_e32 v68, 11, v2
	v_mul_lo_u16_e32 v2, 22, v68
	v_sub_u16_e32 v141, v122, v2
	v_mov_b32_e32 v2, 6
	v_mul_u32_u24_sdwa v3, v141, v2 dst_sel:DWORD dst_unused:UNUSED_PAD src0_sel:BYTE_0 src1_sel:DWORD
	v_lshlrev_b32_e32 v3, 4, v3
	s_waitcnt lgkmcnt(0)
	s_barrier
	global_load_dwordx4 v[28:31], v3, s[8:9] offset:336
	global_load_dwordx4 v[32:35], v3, s[8:9] offset:320
	;; [unrolled: 1-line block ×6, first 2 shown]
	v_lshrrev_b16_e32 v3, 1, v132
	v_and_b32_e32 v3, 0x7f, v3
	v_mul_lo_u16_e32 v3, 0xbb, v3
	v_lshrrev_b16_e32 v142, 11, v3
	v_mul_lo_u16_e32 v3, 22, v142
	v_sub_u16_e32 v143, v132, v3
	v_mul_u32_u24_sdwa v2, v143, v2 dst_sel:DWORD dst_unused:UNUSED_PAD src0_sel:BYTE_0 src1_sel:DWORD
	v_lshlrev_b32_e32 v2, 4, v2
	global_load_dwordx4 v[52:55], v2, s[8:9] offset:320
	global_load_dwordx4 v[56:59], v2, s[8:9] offset:336
	;; [unrolled: 1-line block ×6, first 2 shown]
	ds_read2_b64 v[88:91], v133 offset0:77 offset1:154
	ds_read2_b64 v[92:95], v69 offset0:103 offset1:180
	;; [unrolled: 1-line block ×6, first 2 shown]
	ds_read_b64 v[2:3], v123
	ds_read_b64 v[64:65], v133 offset:8008
	s_mov_b32 s4, 0x37e14327
	s_mov_b32 s0, 0x36b3c0b5
	s_mov_b32 s18, 0xe976ee23
	s_mov_b32 s6, 0x429ad128
	s_mov_b32 s5, 0x3fe948f6
	s_mov_b32 s1, 0x3fac98ee
	s_mov_b32 s19, 0xbfe11646
	s_mov_b32 s7, 0x3febfeb5
	s_mov_b32 s12, 0xaaaaaaaa
	s_mov_b32 s10, 0x5476071b
	s_mov_b32 s22, 0xb247c609
	s_mov_b32 s13, 0xbff2aaaa
	s_mov_b32 s11, 0x3fe77f67
	s_mov_b32 s15, 0xbfe77f67
	s_mov_b32 s14, s10
	s_mov_b32 s23, 0x3fd5d0dc
	s_mov_b32 s21, 0xbfd5d0dc
	s_mov_b32 s20, s22
	s_mov_b32 s16, 0x37c3f68c
	s_mov_b32 s17, 0x3fdc38aa
	s_movk_i32 s24, 0x4d0
	s_waitcnt vmcnt(0) lgkmcnt(0)
	s_barrier
	v_mul_f64 v[112:113], v[94:95], v[30:31]
	v_mul_f64 v[70:71], v[90:91], v[34:35]
	;; [unrolled: 1-line block ×14, first 2 shown]
	v_fma_f64 v[6:7], v[6:7], v[32:33], -v[70:71]
	v_fma_f64 v[32:33], v[90:91], v[32:33], v[34:35]
	v_fma_f64 v[10:11], v[10:11], v[28:29], -v[112:113]
	v_fma_f64 v[28:29], v[94:95], v[28:29], v[30:31]
	;; [unrolled: 2-line block ×7, first 2 shown]
	v_mul_f64 v[128:129], v[96:97], v[58:59]
	v_mul_f64 v[58:59], v[12:13], v[58:59]
	v_add_f64 v[50:51], v[6:7], v[26:27]
	v_add_f64 v[52:53], v[32:33], v[38:39]
	v_add_f64 v[6:7], v[6:7], -v[26:27]
	v_add_f64 v[26:27], v[32:33], -v[38:39]
	v_add_f64 v[32:33], v[10:11], v[22:23]
	v_add_f64 v[38:39], v[28:29], v[36:37]
	v_mul_f64 v[130:131], v[100:101], v[62:63]
	v_mul_f64 v[62:63], v[16:17], v[62:63]
	v_add_f64 v[10:11], v[10:11], -v[22:23]
	v_add_f64 v[22:23], v[28:29], -v[36:37]
	v_add_f64 v[28:29], v[14:15], v[18:19]
	v_add_f64 v[36:37], v[30:31], v[34:35]
	v_add_f64 v[14:15], v[18:19], -v[14:15]
	v_add_f64 v[18:19], v[34:35], -v[30:31]
	v_add_f64 v[30:31], v[32:33], v[50:51]
	v_add_f64 v[34:35], v[38:39], v[52:53]
	v_fma_f64 v[12:13], v[12:13], v[56:57], -v[128:129]
	v_fma_f64 v[42:43], v[96:97], v[56:57], v[58:59]
	v_fma_f64 v[16:17], v[16:17], v[60:61], -v[130:131]
	v_fma_f64 v[44:45], v[100:101], v[60:61], v[62:63]
	v_add_f64 v[54:55], v[32:33], -v[50:51]
	v_add_f64 v[56:57], v[38:39], -v[52:53]
	v_add_f64 v[50:51], v[50:51], -v[28:29]
	v_add_f64 v[52:53], v[52:53], -v[36:37]
	v_add_f64 v[32:33], v[28:29], -v[32:33]
	v_add_f64 v[38:39], v[36:37], -v[38:39]
	v_add_f64 v[58:59], v[14:15], v[10:11]
	v_add_f64 v[60:61], v[18:19], v[22:23]
	v_add_f64 v[62:63], v[14:15], -v[10:11]
	v_add_f64 v[70:71], v[18:19], -v[22:23]
	;; [unrolled: 1-line block ×4, first 2 shown]
	v_add_f64 v[28:29], v[28:29], v[30:31]
	v_add_f64 v[30:31], v[36:37], v[34:35]
	v_add_f64 v[14:15], v[6:7], -v[14:15]
	v_add_f64 v[18:19], v[26:27], -v[18:19]
	v_add_f64 v[6:7], v[58:59], v[6:7]
	v_add_f64 v[26:27], v[60:61], v[26:27]
	v_mul_f64 v[34:35], v[50:51], s[4:5]
	v_mul_f64 v[36:37], v[52:53], s[4:5]
	;; [unrolled: 1-line block ×4, first 2 shown]
	v_add_f64 v[58:59], v[66:67], v[28:29]
	v_add_f64 v[60:61], v[2:3], v[30:31]
	v_mul_f64 v[2:3], v[62:63], s[18:19]
	v_mul_f64 v[62:63], v[70:71], s[18:19]
	;; [unrolled: 1-line block ×6, first 2 shown]
	v_fma_f64 v[28:29], v[28:29], s[12:13], v[58:59]
	v_fma_f64 v[30:31], v[30:31], s[12:13], v[60:61]
	;; [unrolled: 1-line block ×4, first 2 shown]
	v_fma_f64 v[50:51], v[54:55], s[10:11], -v[50:51]
	v_fma_f64 v[52:53], v[56:57], s[10:11], -v[52:53]
	;; [unrolled: 1-line block ×4, first 2 shown]
	v_fma_f64 v[54:55], v[14:15], s[22:23], v[2:3]
	v_fma_f64 v[56:57], v[18:19], s[22:23], v[62:63]
	v_fma_f64 v[2:3], v[10:11], s[6:7], -v[2:3]
	v_fma_f64 v[10:11], v[22:23], s[6:7], -v[62:63]
	;; [unrolled: 1-line block ×4, first 2 shown]
	v_mul_f64 v[82:83], v[24:25], v[82:83]
	v_mul_f64 v[86:87], v[0:1], v[86:87]
	;; [unrolled: 1-line block ×4, first 2 shown]
	v_fma_f64 v[24:25], v[24:25], v[80:81], -v[137:138]
	v_add_f64 v[22:23], v[32:33], v[28:29]
	v_add_f64 v[32:33], v[38:39], v[30:31]
	v_add_f64 v[38:39], v[50:51], v[28:29]
	v_add_f64 v[50:51], v[52:53], v[30:31]
	v_add_f64 v[28:29], v[34:35], v[28:29]
	v_add_f64 v[30:31], v[36:37], v[30:31]
	v_fma_f64 v[18:19], v[26:27], s[16:17], v[18:19]
	v_fma_f64 v[14:15], v[6:7], s[16:17], v[14:15]
	v_fma_f64 v[10:11], v[26:27], s[16:17], v[10:11]
	v_fma_f64 v[2:3], v[6:7], s[16:17], v[2:3]
	v_fma_f64 v[0:1], v[0:1], v[84:85], -v[139:140]
	v_fma_f64 v[48:49], v[108:109], v[80:81], v[82:83]
	v_fma_f64 v[36:37], v[6:7], s[16:17], v[54:55]
	;; [unrolled: 1-line block ×3, first 2 shown]
	v_fma_f64 v[20:21], v[20:21], v[76:77], -v[135:136]
	v_fma_f64 v[46:47], v[104:105], v[76:77], v[78:79]
	v_fma_f64 v[34:35], v[26:27], s[16:17], v[56:57]
	v_add_f64 v[54:55], v[18:19], v[28:29]
	v_add_f64 v[56:57], v[30:31], -v[14:15]
	v_add_f64 v[62:63], v[38:39], -v[10:11]
	v_add_f64 v[64:65], v[2:3], v[50:51]
	v_add_f64 v[10:11], v[10:11], v[38:39]
	v_add_f64 v[38:39], v[50:51], -v[2:3]
	v_add_f64 v[2:3], v[28:29], -v[18:19]
	v_add_f64 v[28:29], v[14:15], v[30:31]
	v_add_f64 v[14:15], v[8:9], v[0:1]
	v_add_f64 v[0:1], v[8:9], -v[0:1]
	v_add_f64 v[8:9], v[12:13], v[24:25]
	v_add_f64 v[18:19], v[40:41], v[6:7]
	v_add_f64 v[30:31], v[42:43], v[48:49]
	v_add_f64 v[6:7], v[40:41], -v[6:7]
	v_add_f64 v[12:13], v[12:13], -v[24:25]
	v_add_f64 v[24:25], v[42:43], -v[48:49]
	v_add_f64 v[40:41], v[16:17], v[20:21]
	v_add_f64 v[42:43], v[44:45], v[46:47]
	v_add_f64 v[16:17], v[20:21], -v[16:17]
	v_add_f64 v[20:21], v[46:47], -v[44:45]
	v_add_f64 v[44:45], v[8:9], v[14:15]
	v_add_f64 v[46:47], v[30:31], v[18:19]
	v_add_f64 v[48:49], v[8:9], -v[14:15]
	v_add_f64 v[50:51], v[30:31], -v[18:19]
	;; [unrolled: 1-line block ×6, first 2 shown]
	v_add_f64 v[66:67], v[16:17], v[12:13]
	v_add_f64 v[70:71], v[20:21], v[24:25]
	v_add_f64 v[76:77], v[16:17], -v[12:13]
	v_add_f64 v[78:79], v[20:21], -v[24:25]
	v_add_f64 v[40:41], v[40:41], v[44:45]
	v_add_f64 v[24:25], v[24:25], -v[6:7]
	v_add_f64 v[42:43], v[42:43], v[46:47]
	v_add_f64 v[12:13], v[12:13], -v[0:1]
	v_add_f64 v[16:17], v[0:1], -v[16:17]
	;; [unrolled: 1-line block ×3, first 2 shown]
	v_add_f64 v[0:1], v[66:67], v[0:1]
	v_add_f64 v[6:7], v[70:71], v[6:7]
	;; [unrolled: 1-line block ×3, first 2 shown]
	v_mul_f64 v[14:15], v[14:15], s[4:5]
	v_mul_f64 v[18:19], v[18:19], s[4:5]
	;; [unrolled: 1-line block ×7, first 2 shown]
	v_add_f64 v[44:45], v[88:89], v[42:43]
	v_mul_f64 v[78:79], v[12:13], s[6:7]
	v_fma_f64 v[40:41], v[40:41], s[12:13], v[4:5]
	v_fma_f64 v[8:9], v[8:9], s[0:1], v[14:15]
	;; [unrolled: 1-line block ×3, first 2 shown]
	v_fma_f64 v[46:47], v[48:49], s[10:11], -v[46:47]
	v_fma_f64 v[66:67], v[50:51], s[10:11], -v[66:67]
	;; [unrolled: 1-line block ×4, first 2 shown]
	v_fma_f64 v[50:51], v[20:21], s[22:23], v[76:77]
	v_fma_f64 v[24:25], v[24:25], s[6:7], -v[76:77]
	v_fma_f64 v[20:21], v[20:21], s[20:21], -v[80:81]
	v_fma_f64 v[42:43], v[42:43], s[12:13], v[44:45]
	v_fma_f64 v[48:49], v[16:17], s[22:23], v[70:71]
	v_fma_f64 v[12:13], v[12:13], s[6:7], -v[70:71]
	v_fma_f64 v[16:17], v[16:17], s[20:21], -v[78:79]
	v_add_f64 v[8:9], v[8:9], v[40:41]
	v_add_f64 v[46:47], v[46:47], v[40:41]
	;; [unrolled: 1-line block ×3, first 2 shown]
	v_fma_f64 v[40:41], v[6:7], s[16:17], v[50:51]
	v_fma_f64 v[20:21], v[6:7], s[16:17], v[20:21]
	v_fma_f64 v[6:7], v[6:7], s[16:17], v[24:25]
	v_add_f64 v[30:31], v[30:31], v[42:43]
	v_add_f64 v[66:67], v[66:67], v[42:43]
	;; [unrolled: 1-line block ×3, first 2 shown]
	v_fma_f64 v[42:43], v[0:1], s[16:17], v[48:49]
	v_fma_f64 v[16:17], v[0:1], s[16:17], v[16:17]
	;; [unrolled: 1-line block ×3, first 2 shown]
	v_add_f64 v[26:27], v[34:35], v[22:23]
	v_add_f64 v[12:13], v[22:23], -v[34:35]
	v_add_f64 v[22:23], v[40:41], v[8:9]
	v_add_f64 v[24:25], v[20:21], v[14:15]
	v_add_f64 v[48:49], v[46:47], -v[6:7]
	v_add_f64 v[6:7], v[6:7], v[46:47]
	v_add_f64 v[8:9], v[8:9], -v[40:41]
	;; [unrolled: 2-line block ×3, first 2 shown]
	v_add_f64 v[0:1], v[14:15], -v[20:21]
	v_mov_b32_e32 v15, 3
	v_add_f64 v[52:53], v[32:33], -v[36:37]
	v_add_f64 v[32:33], v[36:37], v[32:33]
	v_add_f64 v[36:37], v[18:19], -v[16:17]
	v_add_f64 v[66:67], v[16:17], v[18:19]
	v_mad_u32_u24 v14, v68, s24, 0
	v_lshlrev_b32_sdwa v16, v15, v141 dst_sel:DWORD dst_unused:UNUSED_PAD src0_sel:DWORD src1_sel:BYTE_0
	v_add3_u32 v40, v14, v16, v134
	ds_write2_b64 v40, v[58:59], v[26:27] offset1:22
	ds_write2_b64 v40, v[54:55], v[62:63] offset0:44 offset1:66
	ds_write2_b64 v40, v[10:11], v[2:3] offset0:88 offset1:110
	ds_write_b64 v40, v[12:13] offset:1056
	v_mad_u32_u24 v2, v142, s24, 0
	v_lshlrev_b32_sdwa v3, v15, v143 dst_sel:DWORD dst_unused:UNUSED_PAD src0_sel:DWORD src1_sel:BYTE_0
	v_add3_u32 v41, v2, v3, v134
	ds_write2_b64 v41, v[4:5], v[22:23] offset1:22
	ds_write2_b64 v41, v[24:25], v[48:49] offset0:44 offset1:66
	ds_write2_b64 v41, v[6:7], v[0:1] offset0:88 offset1:110
	ds_write_b64 v41, v[8:9] offset:1056
	s_waitcnt lgkmcnt(0)
	s_barrier
	ds_read2_b64 v[0:3], v133 offset0:77 offset1:154
	ds_read2_b64 v[4:7], v69 offset0:103 offset1:180
	ds_read2_b64 v[12:15], v72 offset0:129 offset1:206
	ds_read2_b64 v[20:23], v73 offset0:27 offset1:104
	ds_read2_b64 v[16:19], v74 offset0:53 offset1:130
	ds_read2_b64 v[8:11], v75 offset0:79 offset1:156
	ds_read_b64 v[24:25], v123
	ds_read_b64 v[26:27], v133 offset:8008
	v_add_f64 v[34:35], v[30:31], -v[42:43]
	v_add_f64 v[30:31], v[42:43], v[30:31]
	s_waitcnt lgkmcnt(0)
	s_barrier
	ds_write2_b64 v40, v[60:61], v[52:53] offset1:22
	ds_write2_b64 v40, v[56:57], v[64:65] offset0:44 offset1:66
	ds_write2_b64 v40, v[38:39], v[28:29] offset0:88 offset1:110
	ds_write_b64 v40, v[32:33] offset:1056
	ds_write2_b64 v41, v[44:45], v[34:35] offset1:22
	ds_write2_b64 v41, v[36:37], v[50:51] offset0:44 offset1:66
	ds_write2_b64 v41, v[46:47], v[66:67] offset0:88 offset1:110
	ds_write_b64 v41, v[30:31] offset:1056
	s_waitcnt lgkmcnt(0)
	s_barrier
	s_and_saveexec_b64 s[24:25], vcc
	s_cbranch_execz .LBB0_20
; %bb.19:
	v_mul_u32_u24_e32 v28, 6, v132
	v_lshlrev_b32_e32 v52, 4, v28
	global_load_dwordx4 v[28:31], v52, s[8:9] offset:2480
	global_load_dwordx4 v[32:35], v52, s[8:9] offset:2464
	;; [unrolled: 1-line block ×6, first 2 shown]
	v_mul_u32_u24_e32 v52, 6, v122
	v_lshlrev_b32_e32 v76, 4, v52
	global_load_dwordx4 v[52:55], v76, s[8:9] offset:2480
	global_load_dwordx4 v[56:59], v76, s[8:9] offset:2464
	;; [unrolled: 1-line block ×6, first 2 shown]
	v_add_u32_e32 v80, 0x1400, v133
	v_add_u32_e32 v84, 0x1000, v133
	v_add_u32_e32 v88, 0x800, v133
	v_add_u32_e32 v92, 0x1800, v133
	v_add_u32_e32 v96, 0x400, v133
	ds_read2_b64 v[76:79], v133 offset0:77 offset1:154
	ds_read_b64 v[100:101], v133 offset:8008
	ds_read_b64 v[102:103], v123
	ds_read2_b64 v[80:83], v80 offset0:53 offset1:130
	ds_read2_b64 v[84:87], v84 offset0:27 offset1:104
	;; [unrolled: 1-line block ×5, first 2 shown]
	v_mov_b32_e32 v123, 0
	s_movk_i32 s8, 0x1000
	s_waitcnt vmcnt(11) lgkmcnt(4)
	v_mul_f64 v[104:105], v[80:81], v[30:31]
	s_waitcnt vmcnt(10) lgkmcnt(3)
	v_mul_f64 v[106:107], v[84:85], v[34:35]
	;; [unrolled: 2-line block ×5, first 2 shown]
	s_waitcnt vmcnt(6)
	v_mul_f64 v[114:115], v[100:101], v[50:51]
	v_mul_f64 v[34:35], v[20:21], v[34:35]
	;; [unrolled: 1-line block ×7, first 2 shown]
	s_waitcnt vmcnt(5)
	v_mul_f64 v[116:117], v[86:87], v[54:55]
	s_waitcnt vmcnt(4)
	v_mul_f64 v[118:119], v[90:91], v[58:59]
	;; [unrolled: 2-line block ×5, first 2 shown]
	v_fma_f64 v[16:17], v[16:17], v[28:29], -v[104:105]
	v_fma_f64 v[20:21], v[20:21], v[32:33], -v[106:107]
	;; [unrolled: 1-line block ×4, first 2 shown]
	v_fma_f64 v[32:33], v[32:33], v[84:85], v[34:35]
	v_fma_f64 v[28:29], v[28:29], v[80:81], v[30:31]
	;; [unrolled: 1-line block ×6, first 2 shown]
	s_waitcnt vmcnt(0)
	v_mul_f64 v[130:131], v[94:95], v[74:75]
	v_mul_f64 v[58:59], v[14:15], v[58:59]
	;; [unrolled: 1-line block ×6, first 2 shown]
	v_fma_f64 v[4:5], v[4:5], v[44:45], -v[112:113]
	v_fma_f64 v[26:27], v[26:27], v[48:49], -v[114:115]
	;; [unrolled: 1-line block ×7, first 2 shown]
	v_add_f64 v[2:3], v[16:17], -v[20:21]
	v_add_f64 v[6:7], v[12:13], -v[8:9]
	v_add_f64 v[14:15], v[28:29], v[32:33]
	v_add_f64 v[18:19], v[30:31], v[34:35]
	;; [unrolled: 1-line block ×3, first 2 shown]
	v_mul_f64 v[74:75], v[10:11], v[74:75]
	v_fma_f64 v[48:49], v[10:11], v[72:73], -v[130:131]
	v_add_f64 v[10:11], v[4:5], -v[26:27]
	v_add_f64 v[16:17], v[16:17], v[20:21]
	v_add_f64 v[8:9], v[12:13], v[8:9]
	;; [unrolled: 1-line block ×3, first 2 shown]
	v_add_f64 v[12:13], v[28:29], -v[32:33]
	v_add_f64 v[20:21], v[30:31], -v[34:35]
	;; [unrolled: 1-line block ×5, first 2 shown]
	v_add_f64 v[38:39], v[18:19], v[50:51]
	v_add_f64 v[30:31], v[2:3], v[6:7]
	v_add_f64 v[34:35], v[10:11], -v[2:3]
	v_add_f64 v[2:3], v[14:15], -v[18:19]
	;; [unrolled: 1-line block ×4, first 2 shown]
	v_add_f64 v[88:89], v[8:9], v[4:5]
	v_add_f64 v[92:93], v[12:13], v[20:21]
	v_add_f64 v[96:97], v[12:13], -v[20:21]
	v_add_f64 v[6:7], v[6:7], -v[10:11]
	;; [unrolled: 1-line block ×4, first 2 shown]
	v_mul_f64 v[20:21], v[32:33], s[18:19]
	v_mul_f64 v[32:33], v[36:37], s[4:5]
	v_add_f64 v[14:15], v[14:15], v[38:39]
	v_add_f64 v[18:19], v[18:19], -v[50:51]
	v_add_f64 v[10:11], v[30:31], v[10:11]
	v_mul_f64 v[30:31], v[2:3], s[0:1]
	v_mul_f64 v[38:39], v[84:85], s[4:5]
	v_add_f64 v[16:17], v[16:17], v[88:89]
	v_mul_f64 v[50:51], v[96:97], s[18:19]
	v_mul_f64 v[84:85], v[6:7], s[6:7]
	v_fma_f64 v[96:97], v[2:3], s[0:1], v[32:33]
	v_add_f64 v[2:3], v[76:77], v[14:15]
	v_add_f64 v[28:29], v[40:41], -v[42:43]
	v_add_f64 v[12:13], v[26:27], -v[12:13]
	v_mul_f64 v[36:37], v[80:81], s[0:1]
	v_add_f64 v[26:27], v[92:93], v[26:27]
	v_mul_f64 v[88:89], v[8:9], s[6:7]
	v_fma_f64 v[92:93], v[34:35], s[22:23], v[20:21]
	v_add_f64 v[0:1], v[0:1], v[16:17]
	v_fma_f64 v[34:35], v[34:35], s[20:21], -v[84:85]
	v_fma_f64 v[32:33], v[18:19], s[14:15], -v[32:33]
	;; [unrolled: 1-line block ×4, first 2 shown]
	v_fma_f64 v[14:15], v[14:15], s[12:13], v[2:3]
	v_add_f64 v[84:85], v[22:23], -v[44:45]
	v_fma_f64 v[56:57], v[56:57], v[90:91], v[58:59]
	v_fma_f64 v[58:59], v[60:61], v[98:99], v[62:63]
	;; [unrolled: 1-line block ×7, first 2 shown]
	v_fma_f64 v[38:39], v[4:5], s[14:15], -v[38:39]
	v_fma_f64 v[12:13], v[12:13], s[20:21], -v[88:89]
	;; [unrolled: 1-line block ×3, first 2 shown]
	v_fma_f64 v[16:17], v[16:17], s[12:13], v[0:1]
	v_fma_f64 v[4:5], v[4:5], s[10:11], -v[36:37]
	v_fma_f64 v[30:31], v[10:11], s[16:17], v[92:93]
	v_fma_f64 v[50:51], v[10:11], s[16:17], v[6:7]
	v_add_f64 v[18:19], v[18:19], v[14:15]
	v_add_f64 v[88:89], v[46:47], -v[48:49]
	v_add_f64 v[92:93], v[28:29], -v[84:85]
	v_fma_f64 v[52:53], v[52:53], v[86:87], v[54:55]
	v_add_f64 v[66:67], v[58:59], v[60:61]
	v_add_f64 v[68:69], v[62:63], v[64:65]
	v_fma_f64 v[36:37], v[26:27], s[16:17], v[80:81]
	v_fma_f64 v[20:21], v[10:11], s[16:17], v[34:35]
	;; [unrolled: 1-line block ×3, first 2 shown]
	v_add_f64 v[80:81], v[96:97], v[14:15]
	v_add_f64 v[76:77], v[76:77], v[16:17]
	;; [unrolled: 1-line block ×4, first 2 shown]
	v_fma_f64 v[26:27], v[26:27], s[16:17], v[8:9]
	v_add_f64 v[16:17], v[4:5], v[16:17]
	v_add_f64 v[14:15], v[18:19], -v[50:51]
	v_add_f64 v[18:19], v[50:51], v[18:19]
	v_add_f64 v[50:51], v[28:29], v[84:85]
	v_mul_f64 v[54:55], v[92:93], s[18:19]
	v_add_f64 v[28:29], v[88:89], -v[28:29]
	v_add_f64 v[70:71], v[52:53], v[56:57]
	v_add_f64 v[44:45], v[22:23], v[44:45]
	;; [unrolled: 1-line block ×6, first 2 shown]
	v_add_f64 v[8:9], v[38:39], -v[34:35]
	v_add_f64 v[12:13], v[26:27], v[16:17]
	v_add_f64 v[16:17], v[16:17], -v[26:27]
	v_add_f64 v[22:23], v[32:33], -v[20:21]
	v_add_f64 v[32:33], v[50:51], v[88:89]
	v_fma_f64 v[26:27], v[28:29], s[22:23], v[54:55]
	v_add_f64 v[42:43], v[44:45], v[46:47]
	v_add_f64 v[52:53], v[52:53], -v[56:57]
	v_add_f64 v[56:57], v[58:59], -v[60:61]
	v_add_f64 v[20:21], v[34:35], v[38:39]
	v_add_f64 v[34:35], v[68:69], -v[70:71]
	v_add_f64 v[38:39], v[70:71], v[48:49]
	v_add_f64 v[48:49], v[46:47], -v[40:41]
	v_add_f64 v[62:63], v[62:63], -v[64:65]
	;; [unrolled: 1-line block ×3, first 2 shown]
	v_fma_f64 v[58:59], v[32:33], s[16:17], v[26:27]
	v_add_f64 v[42:43], v[40:41], v[42:43]
	v_add_f64 v[70:71], v[52:53], -v[56:57]
	v_mul_f64 v[34:35], v[34:35], s[4:5]
	v_add_f64 v[26:27], v[102:103], v[38:39]
	v_add_f64 v[40:41], v[40:41], -v[44:45]
	v_mul_f64 v[48:49], v[48:49], s[4:5]
	v_add_f64 v[64:65], v[52:53], v[56:57]
	v_add_f64 v[56:57], v[56:57], -v[62:63]
	v_add_f64 v[72:73], v[84:85], -v[88:89]
	v_mul_f64 v[60:61], v[50:51], s[0:1]
	v_add_f64 v[24:25], v[24:25], v[42:43]
	v_mul_f64 v[70:71], v[70:71], s[18:19]
	v_add_f64 v[52:53], v[62:63], -v[52:53]
	v_fma_f64 v[50:51], v[50:51], s[0:1], v[34:35]
	v_fma_f64 v[38:39], v[38:39], s[12:13], v[26:27]
	;; [unrolled: 1-line block ×3, first 2 shown]
	v_add_f64 v[66:67], v[66:67], -v[68:69]
	v_add_f64 v[44:45], v[44:45], -v[46:47]
	v_mul_f64 v[46:47], v[56:57], s[6:7]
	v_mul_f64 v[40:41], v[40:41], s[0:1]
	;; [unrolled: 1-line block ×3, first 2 shown]
	v_fma_f64 v[42:43], v[42:43], s[12:13], v[24:25]
	v_add_f64 v[62:63], v[64:65], v[62:63]
	v_fma_f64 v[64:65], v[52:53], s[22:23], v[70:71]
	v_add_f64 v[68:69], v[50:51], v[38:39]
	v_fma_f64 v[50:51], v[66:67], s[10:11], -v[60:61]
	v_fma_f64 v[46:47], v[52:53], s[20:21], -v[46:47]
	;; [unrolled: 1-line block ×8, first 2 shown]
	v_add_f64 v[74:75], v[74:75], v[42:43]
	v_fma_f64 v[64:65], v[62:63], s[16:17], v[64:65]
	v_fma_f64 v[66:67], v[62:63], s[16:17], v[46:47]
	v_add_f64 v[44:45], v[50:51], v[38:39]
	v_fma_f64 v[46:47], v[32:33], s[16:17], v[52:53]
	v_fma_f64 v[50:51], v[62:63], s[16:17], v[54:55]
	v_add_f64 v[52:53], v[40:41], v[42:43]
	v_fma_f64 v[56:57], v[32:33], s[16:17], v[28:29]
	v_add_f64 v[60:61], v[34:35], v[38:39]
	v_add_f64 v[48:49], v[48:49], v[42:43]
	v_add_f64 v[54:55], v[68:69], -v[58:59]
	v_add_f64 v[4:5], v[76:77], -v[36:37]
	;; [unrolled: 1-line block ×3, first 2 shown]
	v_add_f64 v[46:47], v[46:47], v[44:45]
	v_add_f64 v[40:41], v[50:51], v[52:53]
	v_add_f64 v[44:45], v[52:53], -v[50:51]
	v_add_f64 v[52:53], v[64:65], v[74:75]
	v_add_f64 v[28:29], v[36:37], v[76:77]
	v_add_f64 v[36:37], v[48:49], -v[66:67]
	v_add_f64 v[50:51], v[60:61], -v[56:57]
	v_add_f64 v[48:49], v[66:67], v[48:49]
	v_add_f64 v[34:35], v[58:59], v[68:69]
	;; [unrolled: 1-line block ×3, first 2 shown]
	v_mov_b32_e32 v56, s3
	v_add_co_u32_e32 v58, vcc, s2, v124
	v_addc_co_u32_e32 v59, vcc, v56, v125, vcc
	v_lshlrev_b64 v[56:57], 4, v[122:123]
	v_add_f64 v[32:33], v[74:75], -v[64:65]
	v_add_co_u32_e32 v56, vcc, v58, v56
	v_addc_co_u32_e32 v57, vcc, v59, v57, vcc
	global_store_dwordx4 v[56:57], v[24:27], off
	global_store_dwordx4 v[56:57], v[52:55], off offset:2464
	v_add_co_u32_e32 v24, vcc, s8, v56
	v_addc_co_u32_e32 v25, vcc, 0, v57, vcc
	s_movk_i32 s0, 0x2000
	s_mov_b32 s2, 0x3531dec1
	global_store_dwordx4 v[24:25], v[48:51], off offset:832
	global_store_dwordx4 v[24:25], v[44:47], off offset:3296
	v_add_co_u32_e32 v24, vcc, s0, v56
	v_mul_hi_u32 v26, v132, s2
	v_addc_co_u32_e32 v25, vcc, 0, v57, vcc
	s_movk_i32 s1, 0x3000
	global_store_dwordx4 v[24:25], v[40:43], off offset:1664
	v_add_co_u32_e32 v24, vcc, s1, v56
	v_add_f64 v[6:7], v[30:31], v[80:81]
	v_add_f64 v[30:31], v[80:81], -v[30:31]
	v_addc_co_u32_e32 v25, vcc, 0, v57, vcc
	global_store_dwordx4 v[24:25], v[36:39], off offset:32
	global_store_dwordx4 v[24:25], v[32:35], off offset:2496
	v_lshrrev_b32_e32 v24, 5, v26
	v_mul_u32_u24_e32 v122, 0x39c, v24
	v_lshlrev_b64 v[24:25], 4, v[122:123]
	v_add_co_u32_e32 v24, vcc, v56, v24
	v_addc_co_u32_e32 v25, vcc, v57, v25, vcc
	global_store_dwordx4 v[24:25], v[0:3], off offset:1232
	global_store_dwordx4 v[24:25], v[28:31], off offset:3696
	v_add_co_u32_e32 v0, vcc, s8, v24
	v_addc_co_u32_e32 v1, vcc, 0, v25, vcc
	global_store_dwordx4 v[0:1], v[20:23], off offset:2064
	v_add_co_u32_e32 v0, vcc, s0, v24
	v_addc_co_u32_e32 v1, vcc, 0, v25, vcc
	global_store_dwordx4 v[0:1], v[16:19], off offset:432
	global_store_dwordx4 v[0:1], v[12:15], off offset:2896
	v_add_co_u32_e32 v0, vcc, 0x3000, v24
	v_addc_co_u32_e32 v1, vcc, 0, v25, vcc
	global_store_dwordx4 v[0:1], v[8:11], off offset:1264
	global_store_dwordx4 v[0:1], v[4:7], off offset:3728
.LBB0_20:
	s_endpgm
	.section	.rodata,"a",@progbits
	.p2align	6, 0x0
	.amdhsa_kernel fft_rtc_fwd_len1078_factors_2_11_7_7_wgs_231_tpt_77_halfLds_dp_ip_CI_unitstride_sbrr_dirReg
		.amdhsa_group_segment_fixed_size 0
		.amdhsa_private_segment_fixed_size 0
		.amdhsa_kernarg_size 88
		.amdhsa_user_sgpr_count 6
		.amdhsa_user_sgpr_private_segment_buffer 1
		.amdhsa_user_sgpr_dispatch_ptr 0
		.amdhsa_user_sgpr_queue_ptr 0
		.amdhsa_user_sgpr_kernarg_segment_ptr 1
		.amdhsa_user_sgpr_dispatch_id 0
		.amdhsa_user_sgpr_flat_scratch_init 0
		.amdhsa_user_sgpr_private_segment_size 0
		.amdhsa_uses_dynamic_stack 0
		.amdhsa_system_sgpr_private_segment_wavefront_offset 0
		.amdhsa_system_sgpr_workgroup_id_x 1
		.amdhsa_system_sgpr_workgroup_id_y 0
		.amdhsa_system_sgpr_workgroup_id_z 0
		.amdhsa_system_sgpr_workgroup_info 0
		.amdhsa_system_vgpr_workitem_id 0
		.amdhsa_next_free_vgpr 223
		.amdhsa_next_free_sgpr 38
		.amdhsa_reserve_vcc 1
		.amdhsa_reserve_flat_scratch 0
		.amdhsa_float_round_mode_32 0
		.amdhsa_float_round_mode_16_64 0
		.amdhsa_float_denorm_mode_32 3
		.amdhsa_float_denorm_mode_16_64 3
		.amdhsa_dx10_clamp 1
		.amdhsa_ieee_mode 1
		.amdhsa_fp16_overflow 0
		.amdhsa_exception_fp_ieee_invalid_op 0
		.amdhsa_exception_fp_denorm_src 0
		.amdhsa_exception_fp_ieee_div_zero 0
		.amdhsa_exception_fp_ieee_overflow 0
		.amdhsa_exception_fp_ieee_underflow 0
		.amdhsa_exception_fp_ieee_inexact 0
		.amdhsa_exception_int_div_zero 0
	.end_amdhsa_kernel
	.text
.Lfunc_end0:
	.size	fft_rtc_fwd_len1078_factors_2_11_7_7_wgs_231_tpt_77_halfLds_dp_ip_CI_unitstride_sbrr_dirReg, .Lfunc_end0-fft_rtc_fwd_len1078_factors_2_11_7_7_wgs_231_tpt_77_halfLds_dp_ip_CI_unitstride_sbrr_dirReg
                                        ; -- End function
	.section	.AMDGPU.csdata,"",@progbits
; Kernel info:
; codeLenInByte = 12972
; NumSgprs: 42
; NumVgprs: 223
; ScratchSize: 0
; MemoryBound: 1
; FloatMode: 240
; IeeeMode: 1
; LDSByteSize: 0 bytes/workgroup (compile time only)
; SGPRBlocks: 5
; VGPRBlocks: 55
; NumSGPRsForWavesPerEU: 42
; NumVGPRsForWavesPerEU: 223
; Occupancy: 1
; WaveLimiterHint : 1
; COMPUTE_PGM_RSRC2:SCRATCH_EN: 0
; COMPUTE_PGM_RSRC2:USER_SGPR: 6
; COMPUTE_PGM_RSRC2:TRAP_HANDLER: 0
; COMPUTE_PGM_RSRC2:TGID_X_EN: 1
; COMPUTE_PGM_RSRC2:TGID_Y_EN: 0
; COMPUTE_PGM_RSRC2:TGID_Z_EN: 0
; COMPUTE_PGM_RSRC2:TIDIG_COMP_CNT: 0
	.type	__hip_cuid_ecc47e5d6a2b716b,@object ; @__hip_cuid_ecc47e5d6a2b716b
	.section	.bss,"aw",@nobits
	.globl	__hip_cuid_ecc47e5d6a2b716b
__hip_cuid_ecc47e5d6a2b716b:
	.byte	0                               ; 0x0
	.size	__hip_cuid_ecc47e5d6a2b716b, 1

	.ident	"AMD clang version 19.0.0git (https://github.com/RadeonOpenCompute/llvm-project roc-6.4.0 25133 c7fe45cf4b819c5991fe208aaa96edf142730f1d)"
	.section	".note.GNU-stack","",@progbits
	.addrsig
	.addrsig_sym __hip_cuid_ecc47e5d6a2b716b
	.amdgpu_metadata
---
amdhsa.kernels:
  - .args:
      - .actual_access:  read_only
        .address_space:  global
        .offset:         0
        .size:           8
        .value_kind:     global_buffer
      - .offset:         8
        .size:           8
        .value_kind:     by_value
      - .actual_access:  read_only
        .address_space:  global
        .offset:         16
        .size:           8
        .value_kind:     global_buffer
      - .actual_access:  read_only
        .address_space:  global
        .offset:         24
        .size:           8
        .value_kind:     global_buffer
      - .offset:         32
        .size:           8
        .value_kind:     by_value
      - .actual_access:  read_only
        .address_space:  global
        .offset:         40
        .size:           8
        .value_kind:     global_buffer
      - .actual_access:  read_only
        .address_space:  global
        .offset:         48
        .size:           8
        .value_kind:     global_buffer
      - .offset:         56
        .size:           4
        .value_kind:     by_value
      - .actual_access:  read_only
        .address_space:  global
        .offset:         64
        .size:           8
        .value_kind:     global_buffer
      - .actual_access:  read_only
        .address_space:  global
        .offset:         72
        .size:           8
        .value_kind:     global_buffer
      - .address_space:  global
        .offset:         80
        .size:           8
        .value_kind:     global_buffer
    .group_segment_fixed_size: 0
    .kernarg_segment_align: 8
    .kernarg_segment_size: 88
    .language:       OpenCL C
    .language_version:
      - 2
      - 0
    .max_flat_workgroup_size: 231
    .name:           fft_rtc_fwd_len1078_factors_2_11_7_7_wgs_231_tpt_77_halfLds_dp_ip_CI_unitstride_sbrr_dirReg
    .private_segment_fixed_size: 0
    .sgpr_count:     42
    .sgpr_spill_count: 0
    .symbol:         fft_rtc_fwd_len1078_factors_2_11_7_7_wgs_231_tpt_77_halfLds_dp_ip_CI_unitstride_sbrr_dirReg.kd
    .uniform_work_group_size: 1
    .uses_dynamic_stack: false
    .vgpr_count:     223
    .vgpr_spill_count: 0
    .wavefront_size: 64
amdhsa.target:   amdgcn-amd-amdhsa--gfx906
amdhsa.version:
  - 1
  - 2
...

	.end_amdgpu_metadata
